;; amdgpu-corpus repo=ROCm/rocFFT kind=compiled arch=gfx1030 opt=O3
	.text
	.amdgcn_target "amdgcn-amd-amdhsa--gfx1030"
	.amdhsa_code_object_version 6
	.protected	bluestein_single_back_len1683_dim1_sp_op_CI_CI ; -- Begin function bluestein_single_back_len1683_dim1_sp_op_CI_CI
	.globl	bluestein_single_back_len1683_dim1_sp_op_CI_CI
	.p2align	8
	.type	bluestein_single_back_len1683_dim1_sp_op_CI_CI,@function
bluestein_single_back_len1683_dim1_sp_op_CI_CI: ; @bluestein_single_back_len1683_dim1_sp_op_CI_CI
; %bb.0:
	s_load_dwordx4 s[8:11], s[4:5], 0x28
	v_mul_u32_u24_e32 v1, 0x506, v0
	s_mov_b64 s[22:23], s[2:3]
	s_mov_b64 s[20:21], s[0:1]
	v_mov_b32_e32 v5, 0
	s_add_u32 s20, s20, s7
	v_lshrrev_b32_e32 v1, 16, v1
	s_addc_u32 s21, s21, 0
	s_mov_b32 s0, exec_lo
	v_add_nc_u32_e32 v4, s6, v1
	s_waitcnt lgkmcnt(0)
	v_cmpx_gt_u64_e64 s[8:9], v[4:5]
	s_cbranch_execz .LBB0_15
; %bb.1:
	s_clause 0x1
	s_load_dwordx4 s[0:3], s[4:5], 0x18
	s_load_dwordx2 s[6:7], s[4:5], 0x0
	v_mul_lo_u16 v1, v1, 51
	v_mov_b32_e32 v5, v4
	v_sub_nc_u16 v49, v0, v1
	v_and_b32_e32 v244, 0xffff, v49
	v_lshlrev_b32_e32 v249, 3, v244
	v_or_b32_e32 v243, 0x600, v244
	s_waitcnt lgkmcnt(0)
	s_load_dwordx4 s[12:15], s[0:1], 0x0
	s_clause 0x2
	global_load_dwordx2 v[74:75], v249, s[6:7]
	global_load_dwordx2 v[62:63], v249, s[6:7] offset:792
	global_load_dwordx2 v[64:65], v249, s[6:7] offset:1584
	v_add_co_u32 v241, s0, s6, v249
	buffer_store_dword v5, off, s[20:23], 0 offset:48 ; 4-byte Folded Spill
	buffer_store_dword v6, off, s[20:23], 0 offset:52 ; 4-byte Folded Spill
	v_add_co_ci_u32_e64 v242, null, s7, 0, s0
	v_add_co_u32 v239, vcc_lo, 0x800, v241
	v_add_nc_u32_e32 v8, 0x400, v249
	v_add_co_ci_u32_e32 v240, vcc_lo, 0, v242, vcc_lo
	v_add_co_u32 v237, vcc_lo, 0x1000, v241
	v_add_co_ci_u32_e32 v238, vcc_lo, 0, v242, vcc_lo
	v_add_co_u32 v235, vcc_lo, 0x1800, v241
	v_add_co_ci_u32_e32 v236, vcc_lo, 0, v242, vcc_lo
	s_waitcnt lgkmcnt(0)
	v_mad_u64_u32 v[0:1], null, s14, v4, 0
	v_mad_u64_u32 v[2:3], null, s12, v244, 0
	v_add_co_u32 v233, vcc_lo, 0x2000, v241
	v_add_co_ci_u32_e32 v234, vcc_lo, 0, v242, vcc_lo
	v_add_co_u32 v231, vcc_lo, 0x2800, v241
	v_mad_u64_u32 v[4:5], null, s15, v4, v[1:2]
	v_add_co_ci_u32_e32 v232, vcc_lo, 0, v242, vcc_lo
	v_add_co_u32 v208, vcc_lo, 0x3000, v241
	v_add_co_ci_u32_e32 v209, vcc_lo, 0, v242, vcc_lo
	v_mad_u64_u32 v[5:6], null, s13, v244, v[3:4]
	v_mov_b32_e32 v1, v4
	s_mul_i32 s1, s13, 0x63
	s_mul_hi_u32 s8, s12, 0x63
	s_mul_i32 s0, s12, 0x63
	s_add_i32 s1, s8, s1
	v_lshlrev_b64 v[0:1], 3, v[0:1]
	v_mov_b32_e32 v3, v5
	s_lshl_b64 s[16:17], s[0:1], 3
	s_clause 0xb
	global_load_dwordx2 v[82:83], v[239:240], off offset:328
	global_load_dwordx2 v[80:81], v[239:240], off offset:1120
	;; [unrolled: 1-line block ×12, first 2 shown]
	v_lshlrev_b64 v[2:3], 3, v[2:3]
	v_add_co_u32 v9, vcc_lo, s10, v0
	v_add_co_ci_u32_e32 v10, vcc_lo, s11, v1, vcc_lo
	v_add_co_u32 v0, vcc_lo, v9, v2
	v_add_co_ci_u32_e32 v1, vcc_lo, v10, v3, vcc_lo
	;; [unrolled: 2-line block ×3, first 2 shown]
	global_load_dwordx2 v[11:12], v[0:1], off
	v_add_co_u32 v4, vcc_lo, v2, s16
	v_add_co_ci_u32_e32 v5, vcc_lo, s17, v3, vcc_lo
	v_add_co_u32 v6, vcc_lo, v4, s16
	v_add_co_ci_u32_e32 v7, vcc_lo, s17, v5, vcc_lo
	s_clause 0x2
	global_load_dwordx2 v[13:14], v[2:3], off
	global_load_dwordx2 v[15:16], v[4:5], off
	;; [unrolled: 1-line block ×3, first 2 shown]
	v_add_co_u32 v0, vcc_lo, v6, s16
	v_add_co_ci_u32_e32 v1, vcc_lo, s17, v7, vcc_lo
	v_add_nc_u32_e32 v6, 0x800, v249
	v_add_co_u32 v2, vcc_lo, v0, s16
	v_add_co_ci_u32_e32 v3, vcc_lo, s17, v1, vcc_lo
	global_load_dwordx2 v[19:20], v[0:1], off
	v_add_co_u32 v0, vcc_lo, v2, s16
	v_add_co_ci_u32_e32 v1, vcc_lo, s17, v3, vcc_lo
	global_load_dwordx2 v[21:22], v[2:3], off
	;; [unrolled: 3-line block ×12, first 2 shown]
	s_clause 0x1
	global_load_dwordx2 v[56:57], v[231:232], off offset:1640
	global_load_dwordx2 v[58:59], v[208:209], off offset:384
	global_load_dwordx2 v[43:44], v[0:1], off
	s_load_dwordx2 s[14:15], s[4:5], 0x38
	s_load_dwordx4 s[8:11], s[2:3], 0x0
	v_add_nc_u32_e32 v5, 0x1000, v249
	v_add_nc_u32_e32 v3, 0x1800, v249
	;; [unrolled: 1-line block ×4, first 2 shown]
	v_cmp_gt_u16_e32 vcc_lo, 48, v49
	s_waitcnt vmcnt(18)
	v_mul_f32_e32 v45, v12, v75
	v_mul_f32_e32 v7, v11, v75
	v_fmac_f32_e32 v45, v11, v74
	buffer_store_dword v74, off, s[20:23], 0 offset:104 ; 4-byte Folded Spill
	buffer_store_dword v75, off, s[20:23], 0 offset:108 ; 4-byte Folded Spill
	s_waitcnt vmcnt(17)
	v_mul_f32_e32 v47, v14, v63
	v_mul_f32_e32 v48, v13, v63
	s_waitcnt vmcnt(16)
	v_mul_f32_e32 v11, v16, v65
	v_fmac_f32_e32 v47, v13, v62
	buffer_store_dword v62, off, s[20:23], 0 offset:56 ; 4-byte Folded Spill
	buffer_store_dword v63, off, s[20:23], 0 offset:60 ; 4-byte Folded Spill
	v_fmac_f32_e32 v11, v15, v64
	s_waitcnt vmcnt(15)
	v_mul_f32_e32 v13, v18, v83
	v_fmac_f32_e32 v13, v17, v82
	v_fma_f32 v46, v12, v74, -v7
	v_mul_f32_e32 v12, v15, v65
	s_waitcnt vmcnt(14)
	v_mul_f32_e32 v15, v20, v81
	v_add_nc_u32_e32 v7, 0x2800, v249
	v_fmac_f32_e32 v15, v19, v80
	v_fma_f32 v48, v14, v62, -v48
	v_mul_f32_e32 v14, v17, v83
	s_waitcnt vmcnt(13)
	v_mul_f32_e32 v17, v22, v79
	ds_write2_b64 v249, v[45:46], v[47:48] offset1:99
	buffer_store_dword v64, off, s[20:23], 0 offset:64 ; 4-byte Folded Spill
	buffer_store_dword v65, off, s[20:23], 0 offset:68 ; 4-byte Folded Spill
	;; [unrolled: 1-line block ×4, first 2 shown]
	v_mul_f32_e32 v45, v21, v79
	v_fmac_f32_e32 v17, v21, v78
	s_waitcnt vmcnt(2)
	v_mul_f32_e32 v21, v42, v57
	v_fmac_f32_e32 v21, v41, v56
	v_fma_f32 v12, v16, v64, -v12
	v_mul_f32_e32 v16, v19, v81
	buffer_store_dword v80, off, s[20:23], 0 offset:128 ; 4-byte Folded Spill
	buffer_store_dword v81, off, s[20:23], 0 offset:132 ; 4-byte Folded Spill
	;; [unrolled: 1-line block ×4, first 2 shown]
	v_fma_f32 v14, v18, v82, -v14
	v_mul_f32_e32 v19, v24, v77
	ds_write2_b64 v8, v[11:12], v[13:14] offset0:70 offset1:169
	v_mul_f32_e32 v11, v26, v73
	v_fmac_f32_e32 v19, v23, v76
	v_mul_f32_e32 v12, v25, v73
	v_mul_f32_e32 v13, v28, v71
	v_mul_f32_e32 v14, v27, v71
	v_fmac_f32_e32 v11, v25, v72
	v_fmac_f32_e32 v13, v27, v70
	v_fma_f32 v16, v20, v80, -v16
	v_fma_f32 v18, v22, v78, -v45
	v_mul_f32_e32 v20, v23, v77
	s_waitcnt vmcnt(0)
	v_mul_f32_e32 v23, v44, v59
	v_mul_f32_e32 v22, v41, v57
	ds_write2_b64 v6, v[15:16], v[17:18] offset0:140 offset1:239
	buffer_store_dword v76, off, s[20:23], 0 offset:112 ; 4-byte Folded Spill
	buffer_store_dword v77, off, s[20:23], 0 offset:116 ; 4-byte Folded Spill
	v_mul_f32_e32 v15, v30, v69
	buffer_store_dword v72, off, s[20:23], 0 offset:96 ; 4-byte Folded Spill
	buffer_store_dword v73, off, s[20:23], 0 offset:100 ; 4-byte Folded Spill
	v_mul_f32_e32 v16, v29, v69
	;; [unrolled: 3-line block ×3, first 2 shown]
	v_fmac_f32_e32 v15, v29, v68
	buffer_store_dword v68, off, s[20:23], 0 offset:80 ; 4-byte Folded Spill
	buffer_store_dword v69, off, s[20:23], 0 offset:84 ; 4-byte Folded Spill
	v_fmac_f32_e32 v23, v43, v58
	v_fmac_f32_e32 v17, v33, v60
	v_fma_f32 v20, v24, v76, -v20
	v_mul_f32_e32 v24, v43, v59
	v_fma_f32 v12, v26, v72, -v12
	v_fma_f32 v14, v28, v70, -v14
	;; [unrolled: 1-line block ×3, first 2 shown]
	ds_write2_b64 v5, v[19:20], v[11:12] offset0:82 offset1:181
	v_mul_f32_e32 v11, v32, v67
	v_mul_f32_e32 v12, v31, v67
	v_mul_f32_e32 v19, v40, v51
	ds_write2_b64 v3, v[13:14], v[15:16] offset0:24 offset1:123
	v_mul_f32_e32 v14, v33, v61
	v_fmac_f32_e32 v11, v31, v66
	buffer_store_dword v66, off, s[20:23], 0 offset:72 ; 4-byte Folded Spill
	buffer_store_dword v67, off, s[20:23], 0 offset:76 ; 4-byte Folded Spill
	;; [unrolled: 1-line block ×4, first 2 shown]
	v_mul_f32_e32 v13, v36, v55
	v_mul_f32_e32 v15, v38, v53
	v_mul_f32_e32 v16, v37, v53
	v_mul_f32_e32 v20, v39, v51
	v_fmac_f32_e32 v19, v39, v50
	v_fmac_f32_e32 v13, v35, v54
	;; [unrolled: 1-line block ×3, first 2 shown]
	v_fma_f32 v12, v32, v66, -v12
	v_fma_f32 v18, v34, v60, -v14
	v_mul_f32_e32 v14, v35, v55
	buffer_store_dword v54, off, s[20:23], 0 offset:16 ; 4-byte Folded Spill
	buffer_store_dword v55, off, s[20:23], 0 offset:20 ; 4-byte Folded Spill
	;; [unrolled: 1-line block ×4, first 2 shown]
	buffer_store_dword v50, off, s[20:23], 0 ; 4-byte Folded Spill
	buffer_store_dword v51, off, s[20:23], 0 offset:4 ; 4-byte Folded Spill
	buffer_store_dword v56, off, s[20:23], 0 offset:24 ; 4-byte Folded Spill
	;; [unrolled: 1-line block ×5, first 2 shown]
	v_fma_f32 v14, v36, v54, -v14
	v_fma_f32 v16, v38, v52, -v16
	;; [unrolled: 1-line block ×5, first 2 shown]
	ds_write2_b64 v2, v[11:12], v[17:18] offset0:94 offset1:193
	ds_write2_b64 v4, v[13:14], v[15:16] offset0:36 offset1:135
	ds_write2_b64 v7, v[19:20], v[21:22] offset0:106 offset1:205
	ds_write_b64 v249, v[23:24] offset:12672
	s_and_saveexec_b32 s1, vcc_lo
	s_cbranch_execz .LBB0_3
; %bb.2:
	v_mad_u64_u32 v[0:1], null, 0xffffd018, s12, v[0:1]
	s_mul_i32 s0, s13, 0xffffd018
	s_clause 0x2
	global_load_dwordx2 v[13:14], v[241:242], off offset:408
	global_load_dwordx2 v[15:16], v[241:242], off offset:1200
	;; [unrolled: 1-line block ×3, first 2 shown]
	s_sub_i32 s0, s0, s12
	s_clause 0x2
	global_load_dwordx2 v[21:22], v[239:240], off offset:736
	global_load_dwordx2 v[23:24], v[239:240], off offset:1528
	;; [unrolled: 1-line block ×3, first 2 shown]
	v_mad_u64_u32 v[29:30], null, s12, v243, 0
	v_add_nc_u32_e32 v1, s0, v1
	v_add_co_u32 v11, s0, v0, s16
	v_add_nc_u32_e32 v79, 0x2c00, v249
	v_add_co_ci_u32_e64 v12, s0, s17, v1, s0
	v_add_co_u32 v19, s0, v11, s16
	global_load_dwordx2 v[0:1], v[0:1], off
	v_add_co_ci_u32_e64 v20, s0, s17, v12, s0
	v_add_co_u32 v27, s0, v19, s16
	v_add_co_ci_u32_e64 v28, s0, s17, v20, s0
	v_add_co_u32 v31, s0, v27, s16
	;; [unrolled: 2-line block ×3, first 2 shown]
	v_add_co_ci_u32_e64 v34, s0, s17, v32, s0
	global_load_dwordx2 v[11:12], v[11:12], off
	global_load_dwordx2 v[19:20], v[19:20], off
	;; [unrolled: 1-line block ×5, first 2 shown]
	v_add_co_u32 v33, s0, v33, s16
	v_add_co_ci_u32_e64 v34, s0, s17, v34, s0
	s_waitcnt vmcnt(5)
	v_mul_f32_e32 v77, v1, v14
	v_mul_f32_e32 v78, v0, v14
	v_fmac_f32_e32 v77, v0, v13
	v_fma_f32 v78, v1, v13, -v78
	s_waitcnt vmcnt(4)
	v_mul_f32_e32 v14, v12, v16
	v_mul_f32_e32 v16, v11, v16
	s_waitcnt vmcnt(3)
	v_mul_f32_e32 v0, v20, v18
	s_waitcnt vmcnt(1)
	v_mad_u64_u32 v[37:38], null, s13, v243, v[30:31]
	v_add_co_u32 v38, s0, v33, s16
	v_add_co_ci_u32_e64 v39, s0, s17, v34, s0
	global_load_dwordx2 v[33:34], v[33:34], off
	v_add_co_u32 v40, s0, v38, s16
	v_add_co_ci_u32_e64 v41, s0, s17, v39, s0
	v_mov_b32_e32 v30, v37
	v_add_co_u32 v42, s0, v40, s16
	v_add_co_ci_u32_e64 v43, s0, s17, v41, s0
	v_lshlrev_b64 v[29:30], 3, v[29:30]
	v_add_co_u32 v44, s0, v42, s16
	v_add_co_ci_u32_e64 v45, s0, s17, v43, s0
	v_lshlrev_b32_e32 v37, 3, v243
	v_add_co_u32 v9, s0, v9, v29
	v_add_co_ci_u32_e64 v10, s0, v10, v30, s0
	global_load_dwordx2 v[9:10], v[9:10], off
	global_load_dwordx2 v[46:47], v37, s[6:7]
	global_load_dwordx2 v[37:38], v[38:39], off
	v_add_co_u32 v29, s0, v44, s16
	v_add_co_ci_u32_e64 v30, s0, s17, v45, s0
	s_clause 0x1
	global_load_dwordx2 v[50:51], v[237:238], off offset:1064
	global_load_dwordx2 v[52:53], v[237:238], off offset:1856
	v_add_co_u32 v48, s0, v29, s16
	v_add_co_ci_u32_e64 v49, s0, s17, v30, s0
	global_load_dwordx2 v[39:40], v[40:41], off
	v_add_co_u32 v54, s0, v48, s16
	v_add_co_ci_u32_e64 v55, s0, s17, v49, s0
	global_load_dwordx2 v[41:42], v[42:43], off
	s_clause 0x1
	global_load_dwordx2 v[58:59], v[235:236], off offset:600
	global_load_dwordx2 v[60:61], v[235:236], off offset:1392
	v_add_co_u32 v56, s0, v54, s16
	v_add_co_ci_u32_e64 v57, s0, s17, v55, s0
	global_load_dwordx2 v[43:44], v[44:45], off
	global_load_dwordx2 v[64:65], v[233:234], off offset:136
	global_load_dwordx2 v[29:30], v[29:30], off
	global_load_dwordx2 v[66:67], v[233:234], off offset:928
	v_fmac_f32_e32 v14, v11, v15
	v_mad_u64_u32 v[62:63], null, 0x630, s12, v[56:57]
	v_fma_f32 v15, v12, v15, -v16
	v_mul_f32_e32 v1, v19, v18
	v_mul_f32_e32 v11, v28, v22
	;; [unrolled: 1-line block ×3, first 2 shown]
	v_fmac_f32_e32 v0, v19, v17
	v_mul_f32_e32 v13, v32, v24
	v_mov_b32_e32 v45, v63
	v_fma_f32 v1, v20, v17, -v1
	v_fmac_f32_e32 v11, v27, v21
	v_fma_f32 v12, v28, v21, -v12
	v_fmac_f32_e32 v13, v31, v23
	s_waitcnt vmcnt(11)
	v_mad_u64_u32 v[68:69], null, 0x630, s13, v[45:46]
	global_load_dwordx2 v[48:49], v[48:49], off
	global_load_dwordx2 v[69:70], v[233:234], off offset:1720
	global_load_dwordx2 v[54:55], v[54:55], off
	global_load_dwordx2 v[71:72], v[231:232], off offset:464
	v_mul_f32_e32 v16, v9, v47
	v_add_nc_u32_e32 v45, 0xc00, v249
	v_mov_b32_e32 v63, v68
	global_load_dwordx2 v[56:57], v[56:57], off
	s_clause 0x1
	global_load_dwordx2 v[73:74], v[231:232], off offset:1256
	global_load_dwordx2 v[75:76], v[208:209], off offset:792
	global_load_dwordx2 v[62:63], v[62:63], off
	ds_write2_b64 v249, v[77:78], v[14:15] offset0:51 offset1:150
	v_mul_f32_e32 v14, v31, v24
	ds_write2_b64 v8, v[0:1], v[11:12] offset0:121 offset1:220
	v_mul_f32_e32 v0, v36, v26
	v_mul_f32_e32 v1, v35, v26
	;; [unrolled: 1-line block ×3, first 2 shown]
	v_fma_f32 v14, v32, v23, -v14
	v_fma_f32 v16, v10, v46, -v16
	v_fmac_f32_e32 v0, v35, v25
	v_fma_f32 v1, v36, v25, -v1
	v_fmac_f32_e32 v15, v9, v46
	s_waitcnt vmcnt(17)
	v_mul_f32_e32 v9, v34, v51
	v_mul_f32_e32 v10, v33, v51
	s_waitcnt vmcnt(16)
	v_mul_f32_e32 v11, v38, v53
	v_mul_f32_e32 v12, v37, v53
	;; [unrolled: 3-line block ×4, first 2 shown]
	ds_write2_b64 v45, v[13:14], v[0:1] offset0:63 offset1:162
	s_waitcnt vmcnt(10)
	v_mul_f32_e32 v1, v43, v65
	v_fmac_f32_e32 v9, v33, v50
	v_fma_f32 v10, v34, v50, -v10
	v_fmac_f32_e32 v11, v37, v52
	v_fma_f32 v12, v38, v52, -v12
	;; [unrolled: 2-line block ×4, first 2 shown]
	v_mul_f32_e32 v21, v44, v65
	s_waitcnt vmcnt(8)
	v_mul_f32_e32 v0, v30, v67
	v_fma_f32 v22, v44, v64, -v1
	v_mul_f32_e32 v1, v29, v67
	ds_write2_b64 v5, v[9:10], v[11:12] offset0:133 offset1:232
	ds_write2_b64 v3, v[17:18], v[19:20] offset0:75 offset1:174
	v_add_nc_u32_e32 v68, 0x2000, v249
	v_fmac_f32_e32 v21, v43, v64
	v_fmac_f32_e32 v0, v29, v66
	v_fma_f32 v1, v30, v66, -v1
	s_waitcnt vmcnt(6)
	v_mul_f32_e32 v9, v49, v70
	v_mul_f32_e32 v10, v48, v70
	s_waitcnt vmcnt(4)
	v_mul_f32_e32 v11, v55, v72
	v_mul_f32_e32 v12, v54, v72
	v_fmac_f32_e32 v9, v48, v69
	v_fma_f32 v10, v49, v69, -v10
	v_fmac_f32_e32 v11, v54, v71
	s_waitcnt vmcnt(2)
	v_mul_f32_e32 v13, v57, v74
	v_mul_f32_e32 v14, v56, v74
	s_waitcnt vmcnt(0)
	v_mul_f32_e32 v17, v63, v76
	v_mul_f32_e32 v18, v62, v76
	v_fma_f32 v12, v55, v71, -v12
	v_fmac_f32_e32 v13, v56, v73
	v_fma_f32 v14, v57, v73, -v14
	v_fmac_f32_e32 v17, v62, v75
	v_fma_f32 v18, v63, v75, -v18
	ds_write2_b64 v68, v[21:22], v[0:1] offset0:17 offset1:116
	ds_write2_b64 v4, v[9:10], v[11:12] offset0:87 offset1:186
	;; [unrolled: 1-line block ×3, first 2 shown]
	ds_write_b64 v249, v[17:18] offset:13080
.LBB0_3:
	s_or_b32 exec_lo, exec_lo, s1
	s_waitcnt lgkmcnt(0)
	s_waitcnt_vscnt null, 0x0
	s_barrier
	buffer_gl0_inv
	ds_read2_b64 v[60:63], v249 offset1:99
	ds_read2_b64 v[52:55], v8 offset0:70 offset1:169
	ds_read2_b64 v[44:47], v6 offset0:140 offset1:239
	;; [unrolled: 1-line block ×7, first 2 shown]
	ds_read_b64 v[66:67], v249 offset:12672
	s_load_dwordx2 s[2:3], s[4:5], 0x8
	v_mov_b32_e32 v0, 0
	v_mov_b32_e32 v1, 0
                                        ; kill: def $vgpr2 killed $sgpr0 killed $exec
                                        ; implicit-def: $vgpr14
                                        ; implicit-def: $vgpr8
                                        ; implicit-def: $vgpr4
                                        ; implicit-def: $vgpr64
                                        ; implicit-def: $vgpr22
                                        ; implicit-def: $vgpr30
                                        ; implicit-def: $vgpr18
                                        ; implicit-def: $vgpr26
	s_and_saveexec_b32 s0, vcc_lo
	s_cbranch_execz .LBB0_5
; %bb.4:
	v_add_nc_u32_e32 v4, 0x400, v249
	v_add_nc_u32_e32 v5, 0xc00, v249
	;; [unrolled: 1-line block ×3, first 2 shown]
	ds_read2_b64 v[0:3], v249 offset0:51 offset1:150
	v_add_nc_u32_e32 v7, 0x2400, v249
	ds_read2_b64 v[24:27], v4 offset0:121 offset1:220
	ds_read2_b64 v[16:19], v5 offset0:63 offset1:162
	v_add_nc_u32_e32 v4, 0x1800, v249
	v_add_nc_u32_e32 v5, 0x2000, v249
	;; [unrolled: 1-line block ×3, first 2 shown]
	ds_read2_b64 v[28:31], v6 offset0:133 offset1:232
	ds_read2_b64 v[20:23], v4 offset0:75 offset1:174
	ds_read2_b64 v[12:15], v5 offset0:17 offset1:116
	ds_read2_b64 v[8:11], v7 offset0:87 offset1:186
	ds_read2_b64 v[4:7], v64 offset0:29 offset1:128
	ds_read_b64 v[64:65], v249 offset:13080
.LBB0_5:
	s_or_b32 exec_lo, exec_lo, s0
	s_waitcnt lgkmcnt(0)
	v_add_f32_e32 v69, v61, v63
	v_add_f32_e32 v68, v60, v62
	v_sub_f32_e32 v71, v63, v67
	v_add_f32_e32 v73, v67, v63
	v_add_co_u32 v251, s0, v244, 51
	v_add_f32_e32 v69, v69, v53
	v_add_f32_e32 v68, v68, v52
	v_add_co_ci_u32_e64 v70, null, 0, 0, s0
	v_add_f32_e32 v70, v66, v62
	v_add_f32_e32 v69, v69, v55
	v_add_f32_e32 v68, v68, v54
	v_sub_f32_e32 v72, v62, v66
	v_mul_f32_e32 v74, 0xbf2c7751, v71
	v_mul_f32_e32 v76, 0xbf65296c, v71
	v_add_f32_e32 v63, v69, v45
	v_add_f32_e32 v62, v68, v44
	v_mul_f32_e32 v79, 0xbf7ee86f, v72
	v_mul_f32_e32 v68, 0xbeb8f4ab, v71
	v_mul_f32_e32 v69, 0xbeb8f4ab, v72
	v_add_f32_e32 v63, v63, v47
	v_add_f32_e32 v62, v62, v46
	v_mul_f32_e32 v75, 0xbf2c7751, v72
	;; [unrolled: 5-line block ×3, first 2 shown]
	v_fmamk_f32 v88, v73, 0x3dbcf732, v79
	v_mul_f32_e32 v90, 0xbf4c4adb, v71
	v_add_f32_e32 v63, v63, v39
	v_add_f32_e32 v62, v62, v38
	v_mul_f32_e32 v92, 0xbf4c4adb, v72
	v_mul_f32_e32 v93, 0xbf06c442, v71
	v_mul_f32_e32 v96, 0xbf06c442, v72
	v_add_f32_e32 v63, v63, v33
	v_add_f32_e32 v62, v62, v32
	v_mul_f32_e32 v71, 0xbe3c28d5, v71
	v_sub_f32_e32 v100, v53, v59
	v_fma_f32 v81, 0x3f6eb680, v70, -v68
	v_add_f32_e32 v63, v63, v35
	v_add_f32_e32 v62, v62, v34
	v_fmamk_f32 v82, v73, 0x3f6eb680, v69
	v_fmac_f32_e32 v68, 0x3f6eb680, v70
	v_fma_f32 v69, 0x3f6eb680, v73, -v69
	v_add_f32_e32 v63, v63, v41
	v_add_f32_e32 v62, v62, v40
	v_fma_f32 v83, 0x3f3d2fb0, v70, -v74
	v_fmamk_f32 v84, v73, 0x3f3d2fb0, v75
	v_fmac_f32_e32 v74, 0x3f3d2fb0, v70
	v_add_f32_e32 v63, v63, v43
	v_add_f32_e32 v62, v62, v42
	v_fma_f32 v75, 0x3f3d2fb0, v73, -v75
	v_fma_f32 v85, 0x3ee437d1, v70, -v76
	v_fmamk_f32 v86, v73, 0x3ee437d1, v77
	v_add_f32_e32 v63, v63, v49
	v_add_f32_e32 v62, v62, v48
	v_fmac_f32_e32 v76, 0x3ee437d1, v70
	v_fma_f32 v77, 0x3ee437d1, v73, -v77
	v_fma_f32 v87, 0x3dbcf732, v70, -v78
	v_add_f32_e32 v63, v63, v51
	v_add_f32_e32 v62, v62, v50
	v_fmac_f32_e32 v78, 0x3dbcf732, v70
	v_fma_f32 v91, 0xbf1a4643, v70, -v90
	v_fmamk_f32 v94, v73, 0xbf1a4643, v92
	v_add_f32_e32 v63, v63, v57
	v_add_f32_e32 v62, v62, v56
	v_fmac_f32_e32 v90, 0xbf1a4643, v70
	v_fma_f32 v92, 0xbf1a4643, v73, -v92
	v_fma_f32 v95, 0xbf59a7d5, v70, -v93
	v_add_f32_e32 v63, v63, v59
	v_add_f32_e32 v62, v62, v58
	v_fmamk_f32 v97, v73, 0xbf59a7d5, v96
	v_fmac_f32_e32 v93, 0xbf59a7d5, v70
	v_fma_f32 v96, 0xbf59a7d5, v73, -v96
	v_add_f32_e32 v63, v63, v67
	v_mul_f32_e32 v67, 0xbf763a35, v72
	v_mul_f32_e32 v72, 0xbe3c28d5, v72
	v_add_f32_e32 v62, v62, v66
	v_fma_f32 v66, 0x3dbcf732, v73, -v79
	v_add_f32_e32 v79, v61, v88
	v_fma_f32 v88, 0xbe8c1d8e, v70, -v80
	v_fmamk_f32 v89, v73, 0xbe8c1d8e, v67
	v_fmac_f32_e32 v80, 0xbe8c1d8e, v70
	v_fma_f32 v67, 0xbe8c1d8e, v73, -v67
	v_fma_f32 v98, 0xbf7ba420, v70, -v71
	v_fmamk_f32 v99, v73, 0xbf7ba420, v72
	v_add_f32_e32 v101, v58, v52
	v_sub_f32_e32 v52, v52, v58
	v_mul_f32_e32 v58, 0xbf2c7751, v100
	v_fmac_f32_e32 v71, 0xbf7ba420, v70
	v_fma_f32 v70, 0xbf7ba420, v73, -v72
	v_add_f32_e32 v81, v60, v81
	v_add_f32_e32 v82, v61, v82
	;; [unrolled: 1-line block ×16, first 2 shown]
	v_mul_f32_e32 v59, 0xbf2c7751, v52
	v_fma_f32 v72, 0x3f3d2fb0, v101, -v58
	v_add_f32_e32 v61, v61, v70
	v_mul_f32_e32 v70, 0xbf7ee86f, v100
	v_add_f32_e32 v68, v60, v68
	v_add_f32_e32 v83, v60, v83
	;; [unrolled: 1-line block ×15, first 2 shown]
	v_fmamk_f32 v71, v53, 0x3f3d2fb0, v59
	v_add_f32_e32 v72, v72, v81
	v_fmac_f32_e32 v58, 0x3f3d2fb0, v101
	v_fma_f32 v59, 0x3f3d2fb0, v53, -v59
	v_fma_f32 v73, 0x3dbcf732, v101, -v70
	v_mul_f32_e32 v81, 0xbf7ee86f, v52
	v_add_f32_e32 v71, v71, v82
	v_add_f32_e32 v58, v58, v68
	;; [unrolled: 1-line block ×4, first 2 shown]
	v_mul_f32_e32 v69, 0xbf4c4adb, v100
	v_fmamk_f32 v73, v53, 0x3dbcf732, v81
	v_fmac_f32_e32 v70, 0x3dbcf732, v101
	v_fma_f32 v81, 0x3dbcf732, v53, -v81
	v_mul_f32_e32 v82, 0xbf4c4adb, v52
	v_fma_f32 v83, 0xbf1a4643, v101, -v69
	v_add_f32_e32 v73, v73, v84
	v_add_f32_e32 v70, v70, v74
	;; [unrolled: 1-line block ×3, first 2 shown]
	v_fmamk_f32 v75, v53, 0xbf1a4643, v82
	v_fmac_f32_e32 v69, 0xbf1a4643, v101
	v_fma_f32 v82, 0xbf1a4643, v53, -v82
	v_mul_f32_e32 v84, 0xbe3c28d5, v52
	v_add_f32_e32 v81, v83, v85
	v_mul_f32_e32 v83, 0xbe3c28d5, v100
	v_add_f32_e32 v69, v69, v76
	v_add_f32_e32 v76, v82, v77
	v_mul_f32_e32 v77, 0x3f06c442, v100
	v_fmamk_f32 v82, v53, 0xbf7ba420, v84
	v_fma_f32 v84, 0xbf7ba420, v53, -v84
	v_add_f32_e32 v75, v75, v86
	v_fma_f32 v85, 0xbf7ba420, v101, -v83
	v_fmac_f32_e32 v83, 0xbf7ba420, v101
	v_fma_f32 v86, 0xbf59a7d5, v101, -v77
	v_add_f32_e32 v79, v82, v79
	v_mul_f32_e32 v82, 0x3f06c442, v52
	v_add_f32_e32 v66, v84, v66
	v_mul_f32_e32 v84, 0x3f763a35, v100
	v_add_f32_e32 v85, v85, v87
	v_add_f32_e32 v78, v83, v78
	;; [unrolled: 1-line block ×3, first 2 shown]
	v_fmamk_f32 v86, v53, 0xbf59a7d5, v82
	v_fmac_f32_e32 v77, 0xbf59a7d5, v101
	v_fma_f32 v82, 0xbf59a7d5, v53, -v82
	v_mul_f32_e32 v87, 0x3f763a35, v52
	v_fma_f32 v88, 0xbe8c1d8e, v101, -v84
	v_fmac_f32_e32 v84, 0xbe8c1d8e, v101
	v_add_f32_e32 v86, v86, v89
	v_add_f32_e32 v77, v77, v80
	;; [unrolled: 1-line block ×3, first 2 shown]
	v_fmamk_f32 v80, v53, 0xbe8c1d8e, v87
	v_add_f32_e32 v82, v88, v91
	v_mul_f32_e32 v88, 0x3f65296c, v100
	v_fma_f32 v87, 0xbe8c1d8e, v53, -v87
	v_mul_f32_e32 v89, 0x3f65296c, v52
	v_add_f32_e32 v84, v84, v90
	v_mul_f32_e32 v90, 0x3eb8f4ab, v100
	v_add_f32_e32 v80, v80, v94
	v_fma_f32 v91, 0x3ee437d1, v101, -v88
	v_add_f32_e32 v87, v87, v92
	v_fmamk_f32 v92, v53, 0x3ee437d1, v89
	v_fmac_f32_e32 v88, 0x3ee437d1, v101
	v_fma_f32 v89, 0x3ee437d1, v53, -v89
	v_fma_f32 v94, 0x3f6eb680, v101, -v90
	v_mul_f32_e32 v52, 0x3eb8f4ab, v52
	v_add_f32_e32 v91, v91, v95
	v_add_f32_e32 v88, v88, v93
	;; [unrolled: 1-line block ×4, first 2 shown]
	v_sub_f32_e32 v94, v55, v57
	v_sub_f32_e32 v96, v54, v56
	v_fmamk_f32 v95, v53, 0x3f6eb680, v52
	v_fmac_f32_e32 v90, 0x3f6eb680, v101
	v_add_f32_e32 v54, v56, v54
	v_mul_f32_e32 v56, 0xbf65296c, v94
	v_fma_f32 v52, 0x3f6eb680, v53, -v52
	v_add_f32_e32 v53, v57, v55
	v_mul_f32_e32 v55, 0xbf65296c, v96
	v_add_f32_e32 v57, v95, v99
	v_fma_f32 v95, 0x3ee437d1, v54, -v56
	v_add_f32_e32 v60, v90, v60
	v_add_f32_e32 v52, v52, v61
	v_fmamk_f32 v61, v53, 0x3ee437d1, v55
	v_mul_f32_e32 v90, 0xbf4c4adb, v94
	v_fmac_f32_e32 v56, 0x3ee437d1, v54
	v_add_f32_e32 v72, v95, v72
	v_fma_f32 v55, 0x3ee437d1, v53, -v55
	v_add_f32_e32 v61, v61, v71
	v_fma_f32 v71, 0xbf1a4643, v54, -v90
	v_mul_f32_e32 v95, 0xbf4c4adb, v96
	v_add_f32_e32 v56, v56, v58
	v_mul_f32_e32 v58, 0x3e3c28d5, v94
	v_add_f32_e32 v92, v92, v97
	v_add_f32_e32 v55, v55, v59
	;; [unrolled: 1-line block ×3, first 2 shown]
	v_fmamk_f32 v68, v53, 0xbf1a4643, v95
	v_fmac_f32_e32 v90, 0xbf1a4643, v54
	v_fma_f32 v71, 0xbf1a4643, v53, -v95
	v_fma_f32 v95, 0xbf7ba420, v54, -v58
	v_mul_f32_e32 v97, 0x3e3c28d5, v96
	v_add_f32_e32 v68, v68, v73
	v_add_f32_e32 v70, v90, v70
	;; [unrolled: 1-line block ×4, first 2 shown]
	v_fmamk_f32 v74, v53, 0xbf7ba420, v97
	v_mul_f32_e32 v81, 0x3f763a35, v94
	v_fmac_f32_e32 v58, 0xbf7ba420, v54
	v_fma_f32 v90, 0xbf7ba420, v53, -v97
	v_mul_f32_e32 v95, 0x3f763a35, v96
	v_add_f32_e32 v74, v74, v75
	v_fma_f32 v75, 0xbe8c1d8e, v54, -v81
	v_add_f32_e32 v58, v58, v69
	v_add_f32_e32 v69, v90, v76
	v_fmamk_f32 v76, v53, 0xbe8c1d8e, v95
	v_mul_f32_e32 v90, 0x3f2c7751, v94
	v_add_f32_e32 v75, v75, v85
	v_fma_f32 v85, 0xbe8c1d8e, v53, -v95
	v_mul_f32_e32 v95, 0x3f2c7751, v96
	v_add_f32_e32 v76, v76, v79
	v_fma_f32 v79, 0x3f3d2fb0, v54, -v90
	v_fmac_f32_e32 v81, 0xbe8c1d8e, v54
	v_add_f32_e32 v66, v85, v66
	v_fma_f32 v85, 0x3f3d2fb0, v53, -v95
	v_mul_f32_e32 v97, 0xbeb8f4ab, v96
	v_add_f32_e32 v79, v79, v83
	v_fmamk_f32 v83, v53, 0x3f3d2fb0, v95
	v_add_f32_e32 v78, v81, v78
	v_mul_f32_e32 v81, 0xbeb8f4ab, v94
	v_fmac_f32_e32 v90, 0x3f3d2fb0, v54
	v_add_f32_e32 v67, v85, v67
	v_add_f32_e32 v83, v83, v86
	v_fmamk_f32 v85, v53, 0x3f6eb680, v97
	v_mul_f32_e32 v86, 0xbf7ee86f, v94
	v_fma_f32 v95, 0x3f6eb680, v54, -v81
	v_add_f32_e32 v77, v90, v77
	v_fmac_f32_e32 v81, 0x3f6eb680, v54
	v_mul_f32_e32 v90, 0xbf7ee86f, v96
	v_add_f32_e32 v80, v85, v80
	v_fma_f32 v85, 0x3dbcf732, v54, -v86
	v_mul_f32_e32 v94, 0xbf06c442, v94
	v_fmac_f32_e32 v86, 0x3dbcf732, v54
	v_add_f32_e32 v82, v95, v82
	v_fma_f32 v95, 0x3f6eb680, v53, -v97
	v_add_f32_e32 v81, v81, v84
	v_fmamk_f32 v84, v53, 0x3dbcf732, v90
	v_add_f32_e32 v85, v85, v91
	v_fma_f32 v90, 0x3dbcf732, v53, -v90
	v_fma_f32 v91, 0xbf59a7d5, v54, -v94
	v_add_f32_e32 v86, v86, v88
	v_sub_f32_e32 v88, v45, v51
	v_add_f32_e32 v87, v95, v87
	v_add_f32_e32 v84, v84, v92
	v_mul_f32_e32 v92, 0xbf06c442, v96
	v_add_f32_e32 v89, v90, v89
	v_add_f32_e32 v90, v91, v93
	;; [unrolled: 1-line block ×3, first 2 shown]
	v_mul_f32_e32 v95, 0xbf7ee86f, v88
	v_sub_f32_e32 v44, v44, v50
	v_fmamk_f32 v91, v53, 0xbf59a7d5, v92
	v_fmac_f32_e32 v94, 0xbf59a7d5, v54
	v_fma_f32 v50, 0xbf59a7d5, v53, -v92
	v_add_f32_e32 v45, v51, v45
	v_fma_f32 v51, 0x3dbcf732, v93, -v95
	v_mul_f32_e32 v53, 0xbf7ee86f, v44
	v_add_f32_e32 v54, v91, v57
	v_add_f32_e32 v57, v94, v60
	;; [unrolled: 1-line block ×4, first 2 shown]
	v_fmamk_f32 v52, v45, 0x3dbcf732, v53
	v_mul_f32_e32 v60, 0xbe3c28d5, v88
	v_fma_f32 v53, 0x3dbcf732, v45, -v53
	v_mul_f32_e32 v72, 0xbe3c28d5, v44
	v_mul_f32_e32 v91, 0x3f763a35, v88
	v_add_f32_e32 v52, v52, v61
	v_fma_f32 v61, 0xbf7ba420, v93, -v60
	v_add_f32_e32 v53, v53, v55
	v_fmamk_f32 v55, v45, 0xbf7ba420, v72
	v_fmac_f32_e32 v60, 0xbf7ba420, v93
	v_mul_f32_e32 v92, 0x3eb8f4ab, v44
	v_add_f32_e32 v59, v61, v59
	v_fma_f32 v61, 0xbf7ba420, v45, -v72
	v_add_f32_e32 v55, v55, v68
	v_fma_f32 v68, 0xbe8c1d8e, v93, -v91
	v_mul_f32_e32 v72, 0x3f763a35, v44
	v_add_f32_e32 v60, v60, v70
	v_mul_f32_e32 v70, 0x3eb8f4ab, v88
	v_add_f32_e32 v61, v61, v71
	v_add_f32_e32 v68, v68, v73
	v_fmamk_f32 v71, v45, 0xbe8c1d8e, v72
	v_fmac_f32_e32 v91, 0xbe8c1d8e, v93
	v_fma_f32 v72, 0xbe8c1d8e, v45, -v72
	v_fma_f32 v73, 0x3f6eb680, v93, -v70
	v_fmac_f32_e32 v70, 0x3f6eb680, v93
	v_add_f32_e32 v71, v71, v74
	v_add_f32_e32 v58, v91, v58
	;; [unrolled: 1-line block ×4, first 2 shown]
	v_fmamk_f32 v73, v45, 0x3f6eb680, v92
	v_mul_f32_e32 v74, 0xbf65296c, v88
	v_fma_f32 v75, 0x3f6eb680, v45, -v92
	v_mul_f32_e32 v91, 0xbf65296c, v44
	v_add_f32_e32 v70, v70, v78
	v_add_f32_e32 v73, v73, v76
	v_fma_f32 v76, 0x3ee437d1, v93, -v74
	v_add_f32_e32 v66, v75, v66
	v_fmamk_f32 v75, v45, 0x3ee437d1, v91
	v_mul_f32_e32 v78, 0xbf06c442, v88
	v_fmac_f32_e32 v74, 0x3ee437d1, v93
	v_add_f32_e32 v76, v76, v79
	v_fma_f32 v79, 0x3ee437d1, v45, -v91
	v_add_f32_e32 v75, v75, v83
	v_fma_f32 v83, 0xbf59a7d5, v93, -v78
	v_mul_f32_e32 v91, 0xbf06c442, v44
	v_add_f32_e32 v74, v74, v77
	v_mul_f32_e32 v77, 0x3f4c4adb, v88
	v_add_f32_e32 v67, v79, v67
	v_add_f32_e32 v79, v83, v82
	v_fmamk_f32 v82, v45, 0xbf59a7d5, v91
	v_fmac_f32_e32 v78, 0xbf59a7d5, v93
	v_fma_f32 v83, 0xbf59a7d5, v45, -v91
	v_fma_f32 v91, 0xbf1a4643, v93, -v77
	v_mul_f32_e32 v92, 0x3f4c4adb, v44
	v_mul_f32_e32 v44, 0x3f2c7751, v44
	v_add_f32_e32 v80, v82, v80
	v_add_f32_e32 v78, v78, v81
	;; [unrolled: 1-line block ×4, first 2 shown]
	v_mul_f32_e32 v85, 0x3f2c7751, v88
	v_fmac_f32_e32 v77, 0xbf1a4643, v93
	v_fma_f32 v87, 0xbf1a4643, v45, -v92
	v_fmamk_f32 v88, v45, 0x3f3d2fb0, v44
	v_fmamk_f32 v83, v45, 0xbf1a4643, v92
	v_fma_f32 v44, 0x3f3d2fb0, v45, -v44
	v_add_f32_e32 v77, v77, v86
	v_add_f32_e32 v86, v87, v89
	v_sub_f32_e32 v87, v47, v49
	v_add_f32_e32 v54, v88, v54
	v_add_f32_e32 v88, v48, v46
	v_sub_f32_e32 v46, v46, v48
	v_add_f32_e32 v83, v83, v84
	v_fma_f32 v84, 0x3f3d2fb0, v93, -v85
	v_mul_f32_e32 v48, 0xbf763a35, v87
	v_fmac_f32_e32 v85, 0x3f3d2fb0, v93
	v_add_f32_e32 v45, v49, v47
	v_mul_f32_e32 v47, 0xbf763a35, v46
	v_fmac_f32_e32 v95, 0x3dbcf732, v93
	v_fma_f32 v49, 0xbe8c1d8e, v88, -v48
	v_add_f32_e32 v57, v85, v57
	v_add_f32_e32 v44, v44, v50
	v_mul_f32_e32 v50, 0x3f06c442, v87
	v_fmamk_f32 v85, v45, 0xbe8c1d8e, v47
	v_add_f32_e32 v56, v95, v56
	v_add_f32_e32 v49, v49, v51
	v_fmac_f32_e32 v48, 0xbe8c1d8e, v88
	v_fma_f32 v47, 0xbe8c1d8e, v45, -v47
	v_fma_f32 v51, 0xbf59a7d5, v88, -v50
	v_add_f32_e32 v52, v85, v52
	v_mul_f32_e32 v85, 0x3f06c442, v46
	v_add_f32_e32 v48, v48, v56
	v_add_f32_e32 v47, v47, v53
	;; [unrolled: 1-line block ×3, first 2 shown]
	v_mul_f32_e32 v53, 0x3f2c7751, v87
	v_fmamk_f32 v56, v45, 0xbf59a7d5, v85
	v_fma_f32 v59, 0xbf59a7d5, v45, -v85
	v_mul_f32_e32 v85, 0x3f2c7751, v46
	v_fmac_f32_e32 v50, 0xbf59a7d5, v88
	v_fma_f32 v89, 0x3f3d2fb0, v88, -v53
	v_add_f32_e32 v55, v56, v55
	v_add_f32_e32 v56, v59, v61
	v_fmamk_f32 v59, v45, 0x3f3d2fb0, v85
	v_add_f32_e32 v50, v50, v60
	v_add_f32_e32 v60, v89, v68
	v_mul_f32_e32 v61, 0xbf65296c, v87
	v_fmac_f32_e32 v53, 0x3f3d2fb0, v88
	v_fma_f32 v68, 0x3f3d2fb0, v45, -v85
	v_add_f32_e32 v59, v59, v71
	v_mul_f32_e32 v71, 0xbf65296c, v46
	v_fma_f32 v85, 0x3ee437d1, v88, -v61
	v_add_f32_e32 v53, v53, v58
	v_add_f32_e32 v58, v68, v69
	v_mul_f32_e32 v68, 0xbe3c28d5, v87
	v_fmamk_f32 v69, v45, 0x3ee437d1, v71
	v_fma_f32 v71, 0x3ee437d1, v45, -v71
	v_add_f32_e32 v72, v85, v72
	v_fmac_f32_e32 v61, 0x3ee437d1, v88
	v_fma_f32 v85, 0xbf7ba420, v88, -v68
	v_add_f32_e32 v69, v69, v73
	v_mul_f32_e32 v73, 0xbe3c28d5, v46
	v_add_f32_e32 v66, v71, v66
	v_mul_f32_e32 v71, 0x3f7ee86f, v87
	v_add_f32_e32 v61, v61, v70
	v_add_f32_e32 v70, v85, v76
	v_fmamk_f32 v76, v45, 0xbf7ba420, v73
	v_fmac_f32_e32 v68, 0xbf7ba420, v88
	v_fma_f32 v73, 0xbf7ba420, v45, -v73
	v_mul_f32_e32 v85, 0x3f7ee86f, v46
	v_fma_f32 v89, 0x3dbcf732, v88, -v71
	v_add_f32_e32 v75, v76, v75
	v_add_f32_e32 v68, v68, v74
	;; [unrolled: 1-line block ×3, first 2 shown]
	v_fmamk_f32 v73, v45, 0x3dbcf732, v85
	v_add_f32_e32 v74, v89, v79
	v_mul_f32_e32 v76, 0xbeb8f4ab, v87
	v_fmac_f32_e32 v71, 0x3dbcf732, v88
	v_fma_f32 v79, 0x3dbcf732, v45, -v85
	v_add_f32_e32 v73, v73, v80
	v_mul_f32_e32 v80, 0xbeb8f4ab, v46
	v_fma_f32 v85, 0x3f6eb680, v88, -v76
	v_add_f32_e32 v71, v71, v78
	v_add_f32_e32 v78, v79, v81
	v_mul_f32_e32 v79, 0xbf4c4adb, v87
	v_add_f32_e32 v84, v84, v90
	v_fmamk_f32 v81, v45, 0x3f6eb680, v80
	v_add_f32_e32 v82, v85, v82
	v_fmac_f32_e32 v76, 0x3f6eb680, v88
	v_fma_f32 v80, 0x3f6eb680, v45, -v80
	v_fma_f32 v85, 0xbf1a4643, v88, -v79
	v_add_f32_e32 v81, v81, v83
	v_mul_f32_e32 v46, 0xbf4c4adb, v46
	v_add_f32_e32 v76, v76, v77
	v_add_f32_e32 v77, v80, v86
	;; [unrolled: 1-line block ×3, first 2 shown]
	v_sub_f32_e32 v83, v37, v43
	v_sub_f32_e32 v85, v36, v42
	v_fmamk_f32 v84, v45, 0xbf1a4643, v46
	v_fmac_f32_e32 v79, 0xbf1a4643, v88
	v_add_f32_e32 v36, v42, v36
	v_mul_f32_e32 v42, 0xbf4c4adb, v83
	v_fma_f32 v45, 0xbf1a4643, v45, -v46
	v_add_f32_e32 v37, v43, v37
	v_mul_f32_e32 v43, 0xbf4c4adb, v85
	v_add_f32_e32 v46, v84, v54
	v_fma_f32 v54, 0xbf1a4643, v36, -v42
	v_add_f32_e32 v57, v79, v57
	v_add_f32_e32 v44, v45, v44
	v_fmamk_f32 v45, v37, 0xbf1a4643, v43
	v_mul_f32_e32 v79, 0x3f763a35, v83
	v_add_f32_e32 v49, v54, v49
	v_fmac_f32_e32 v42, 0xbf1a4643, v36
	v_fma_f32 v43, 0xbf1a4643, v37, -v43
	v_add_f32_e32 v45, v45, v52
	v_fma_f32 v52, 0xbe8c1d8e, v36, -v79
	v_mul_f32_e32 v54, 0x3f763a35, v85
	v_add_f32_e32 v42, v42, v48
	v_add_f32_e32 v43, v43, v47
	v_mul_f32_e32 v47, 0xbeb8f4ab, v83
	v_add_f32_e32 v48, v52, v51
	v_fmamk_f32 v51, v37, 0xbe8c1d8e, v54
	v_fma_f32 v52, 0xbe8c1d8e, v37, -v54
	v_mul_f32_e32 v84, 0xbeb8f4ab, v85
	v_fmac_f32_e32 v79, 0xbe8c1d8e, v36
	v_fma_f32 v54, 0x3f6eb680, v36, -v47
	v_add_f32_e32 v51, v51, v55
	v_add_f32_e32 v52, v52, v56
	v_fmamk_f32 v55, v37, 0x3f6eb680, v84
	v_mul_f32_e32 v56, 0xbf06c442, v83
	v_add_f32_e32 v50, v79, v50
	v_add_f32_e32 v54, v54, v60
	v_fmac_f32_e32 v47, 0x3f6eb680, v36
	v_fma_f32 v60, 0x3f6eb680, v37, -v84
	v_mul_f32_e32 v79, 0xbf06c442, v85
	v_add_f32_e32 v55, v55, v59
	v_fma_f32 v59, 0xbf59a7d5, v36, -v56
	v_add_f32_e32 v47, v47, v53
	v_add_f32_e32 v53, v60, v58
	v_fmamk_f32 v58, v37, 0xbf59a7d5, v79
	v_mul_f32_e32 v60, 0x3f7ee86f, v83
	v_add_f32_e32 v59, v59, v72
	v_fmac_f32_e32 v56, 0xbf59a7d5, v36
	v_fma_f32 v72, 0xbf59a7d5, v37, -v79
	v_add_f32_e32 v58, v58, v69
	v_fma_f32 v69, 0x3dbcf732, v36, -v60
	v_mul_f32_e32 v79, 0x3f7ee86f, v85
	v_add_f32_e32 v56, v56, v61
	v_add_f32_e32 v61, v72, v66
	v_mul_f32_e32 v66, 0xbf2c7751, v83
	v_add_f32_e32 v69, v69, v70
	v_fmamk_f32 v70, v37, 0x3dbcf732, v79
	v_fmac_f32_e32 v60, 0x3dbcf732, v36
	v_fma_f32 v72, 0x3dbcf732, v37, -v79
	v_fma_f32 v79, 0x3f3d2fb0, v36, -v66
	v_mul_f32_e32 v84, 0xbf2c7751, v85
	v_add_f32_e32 v70, v70, v75
	v_add_f32_e32 v60, v60, v68
	v_fmac_f32_e32 v66, 0x3f3d2fb0, v36
	v_add_f32_e32 v68, v79, v74
	v_fma_f32 v75, 0x3f3d2fb0, v37, -v84
	v_mul_f32_e32 v79, 0xbe3c28d5, v85
	v_add_f32_e32 v67, v72, v67
	v_fmamk_f32 v72, v37, 0x3f3d2fb0, v84
	v_mul_f32_e32 v74, 0xbe3c28d5, v83
	v_add_f32_e32 v66, v66, v71
	v_add_f32_e32 v71, v75, v78
	v_fmamk_f32 v75, v37, 0xbf7ba420, v79
	v_mul_f32_e32 v78, 0x3f65296c, v83
	v_add_f32_e32 v72, v72, v73
	v_fma_f32 v73, 0xbf7ba420, v36, -v74
	v_fmac_f32_e32 v74, 0xbf7ba420, v36
	v_fma_f32 v79, 0xbf7ba420, v37, -v79
	v_add_f32_e32 v75, v75, v81
	v_fma_f32 v81, 0x3ee437d1, v36, -v78
	v_add_f32_e32 v73, v73, v82
	v_mul_f32_e32 v82, 0x3f65296c, v85
	v_add_f32_e32 v74, v74, v76
	v_add_f32_e32 v76, v79, v77
	v_sub_f32_e32 v77, v39, v41
	v_add_f32_e32 v79, v81, v80
	v_add_f32_e32 v81, v40, v38
	v_sub_f32_e32 v38, v38, v40
	v_fmamk_f32 v80, v37, 0x3ee437d1, v82
	v_mul_f32_e32 v40, 0xbf06c442, v77
	v_fmac_f32_e32 v78, 0x3ee437d1, v36
	v_fma_f32 v36, 0x3ee437d1, v37, -v82
	v_add_f32_e32 v37, v41, v39
	v_mul_f32_e32 v39, 0xbf06c442, v38
	v_fma_f32 v41, 0xbf59a7d5, v81, -v40
	v_fmac_f32_e32 v40, 0xbf59a7d5, v81
	v_add_f32_e32 v36, v36, v44
	v_add_f32_e32 v57, v78, v57
	v_fmamk_f32 v44, v37, 0xbf59a7d5, v39
	v_add_f32_e32 v41, v41, v49
	v_mul_f32_e32 v49, 0x3f65296c, v77
	v_fma_f32 v39, 0xbf59a7d5, v37, -v39
	v_add_f32_e32 v40, v40, v42
	v_add_f32_e32 v44, v44, v45
	v_mul_f32_e32 v45, 0x3f65296c, v38
	v_fma_f32 v78, 0x3ee437d1, v81, -v49
	v_add_f32_e32 v39, v39, v43
	v_mul_f32_e32 v42, 0xbf7ee86f, v77
	v_fmac_f32_e32 v49, 0x3ee437d1, v81
	v_fmamk_f32 v43, v37, 0x3ee437d1, v45
	v_add_f32_e32 v48, v78, v48
	v_fma_f32 v45, 0x3ee437d1, v37, -v45
	v_fma_f32 v78, 0x3dbcf732, v81, -v42
	v_add_f32_e32 v49, v49, v50
	v_add_f32_e32 v43, v43, v51
	v_mul_f32_e32 v51, 0xbf7ee86f, v38
	v_add_f32_e32 v45, v45, v52
	v_add_f32_e32 v50, v78, v54
	v_mul_f32_e32 v52, 0x3f4c4adb, v77
	v_fmac_f32_e32 v42, 0x3dbcf732, v81
	v_fmamk_f32 v54, v37, 0x3dbcf732, v51
	v_fma_f32 v51, 0x3dbcf732, v37, -v51
	v_mul_f32_e32 v78, 0x3f4c4adb, v38
	v_add_f32_e32 v46, v80, v46
	v_fma_f32 v80, 0xbf1a4643, v81, -v52
	v_add_f32_e32 v42, v42, v47
	v_add_f32_e32 v47, v51, v53
	v_fmamk_f32 v51, v37, 0xbf1a4643, v78
	v_add_f32_e32 v54, v54, v55
	v_add_f32_e32 v53, v80, v59
	v_mul_f32_e32 v55, 0xbeb8f4ab, v77
	v_fmac_f32_e32 v52, 0xbf1a4643, v81
	v_fma_f32 v59, 0xbf1a4643, v37, -v78
	v_add_f32_e32 v51, v51, v58
	v_mul_f32_e32 v58, 0xbeb8f4ab, v38
	v_fma_f32 v78, 0x3f6eb680, v81, -v55
	v_add_f32_e32 v52, v52, v56
	v_add_f32_e32 v56, v59, v61
	v_mul_f32_e32 v59, 0xbe3c28d5, v77
	v_fmamk_f32 v61, v37, 0x3f6eb680, v58
	v_fma_f32 v58, 0x3f6eb680, v37, -v58
	v_add_f32_e32 v69, v78, v69
	v_fmac_f32_e32 v55, 0x3f6eb680, v81
	v_fma_f32 v78, 0xbf7ba420, v81, -v59
	v_add_f32_e32 v61, v61, v70
	v_mul_f32_e32 v70, 0xbe3c28d5, v38
	v_add_f32_e32 v58, v58, v67
	v_mul_f32_e32 v67, 0x3f2c7751, v77
	v_add_f32_e32 v55, v55, v60
	v_add_f32_e32 v60, v78, v68
	v_fmamk_f32 v68, v37, 0xbf7ba420, v70
	v_fmac_f32_e32 v59, 0xbf7ba420, v81
	v_mul_f32_e32 v78, 0x3f2c7751, v38
	v_fma_f32 v70, 0xbf7ba420, v37, -v70
	v_fma_f32 v80, 0x3f3d2fb0, v81, -v67
	v_fmac_f32_e32 v67, 0x3f3d2fb0, v81
	v_mul_f32_e32 v38, 0xbf763a35, v38
	v_add_f32_e32 v68, v68, v72
	v_add_f32_e32 v59, v59, v66
	v_fmamk_f32 v66, v37, 0x3f3d2fb0, v78
	v_add_f32_e32 v70, v70, v71
	v_add_f32_e32 v71, v80, v73
	v_mul_f32_e32 v72, 0xbf763a35, v77
	v_fma_f32 v73, 0x3f3d2fb0, v37, -v78
	v_add_f32_e32 v67, v67, v74
	v_sub_f32_e32 v74, v33, v35
	v_fmamk_f32 v77, v37, 0xbe8c1d8e, v38
	v_add_f32_e32 v66, v66, v75
	v_fma_f32 v75, 0xbe8c1d8e, v81, -v72
	v_add_f32_e32 v73, v73, v76
	v_add_f32_e32 v76, v34, v32
	v_mul_f32_e32 v78, 0xbe3c28d5, v74
	v_add_f32_e32 v77, v77, v46
	v_sub_f32_e32 v46, v32, v34
	v_add_f32_e32 v75, v75, v79
	v_fma_f32 v32, 0xbe8c1d8e, v37, -v38
	v_fma_f32 v34, 0xbf7ba420, v76, -v78
	v_add_f32_e32 v79, v35, v33
	v_mul_f32_e32 v33, 0xbe3c28d5, v46
	v_mul_f32_e32 v38, 0x3eb8f4ab, v74
	v_add_f32_e32 v100, v32, v36
	v_add_f32_e32 v32, v34, v41
	v_fmac_f32_e32 v78, 0xbf7ba420, v76
	v_fmamk_f32 v34, v79, 0xbf7ba420, v33
	v_fma_f32 v35, 0xbf7ba420, v79, -v33
	v_mul_f32_e32 v37, 0x3eb8f4ab, v46
	v_fma_f32 v36, 0x3f6eb680, v76, -v38
	v_fmac_f32_e32 v38, 0x3f6eb680, v76
	v_add_f32_e32 v33, v34, v44
	v_add_f32_e32 v34, v78, v40
	;; [unrolled: 1-line block ×3, first 2 shown]
	v_fmamk_f32 v39, v79, 0x3f6eb680, v37
	v_add_f32_e32 v36, v36, v48
	v_mul_f32_e32 v44, 0xbf06c442, v74
	v_fma_f32 v40, 0x3f6eb680, v79, -v37
	v_mul_f32_e32 v41, 0xbf06c442, v46
	v_mul_f32_e32 v48, 0x3f2c7751, v74
	v_add_f32_e32 v37, v39, v43
	v_fma_f32 v43, 0xbf59a7d5, v76, -v44
	v_add_f32_e32 v38, v38, v49
	v_add_f32_e32 v39, v40, v45
	v_fmamk_f32 v45, v79, 0xbf59a7d5, v41
	v_fmac_f32_e32 v44, 0xbf59a7d5, v76
	v_fma_f32 v49, 0x3f3d2fb0, v76, -v48
	v_add_f32_e32 v40, v43, v50
	v_fma_f32 v43, 0xbf59a7d5, v79, -v41
	v_add_f32_e32 v41, v45, v54
	v_mul_f32_e32 v45, 0x3f2c7751, v46
	v_add_f32_e32 v42, v44, v42
	v_add_f32_e32 v44, v49, v53
	v_fmac_f32_e32 v48, 0x3f3d2fb0, v76
	v_mul_f32_e32 v53, 0xbf4c4adb, v46
	v_fma_f32 v50, 0x3f3d2fb0, v79, -v45
	v_fmamk_f32 v49, v79, 0x3f3d2fb0, v45
	v_add_f32_e32 v43, v43, v47
	v_add_f32_e32 v98, v48, v52
	v_fmamk_f32 v48, v79, 0xbf1a4643, v53
	v_add_f32_e32 v99, v50, v56
	v_fma_f32 v50, 0xbf1a4643, v79, -v53
	v_mul_f32_e32 v47, 0xbf4c4adb, v74
	v_add_f32_e32 v45, v49, v51
	v_add_f32_e32 v103, v48, v61
	v_mul_f32_e32 v48, 0x3f65296c, v46
	v_mul_f32_e32 v49, 0x3f65296c, v74
	v_add_f32_e32 v106, v50, v58
	v_fma_f32 v54, 0xbf1a4643, v76, -v47
	v_fmac_f32_e32 v47, 0xbf1a4643, v76
	v_fmamk_f32 v50, v79, 0x3ee437d1, v48
	v_fma_f32 v51, 0x3ee437d1, v76, -v49
	v_fmac_f32_e32 v49, 0x3ee437d1, v76
	v_fma_f32 v48, 0x3ee437d1, v79, -v48
	v_add_f32_e32 v105, v47, v55
	v_add_f32_e32 v108, v50, v68
	v_mul_f32_e32 v50, 0xbf763a35, v46
	v_mul_f32_e32 v47, 0xbf763a35, v74
	v_add_f32_e32 v109, v49, v59
	v_add_f32_e32 v110, v48, v70
	v_mul_f32_e32 v49, 0x3f7ee86f, v46
	v_fmamk_f32 v48, v79, 0xbe8c1d8e, v50
	v_fma_f32 v46, 0xbe8c1d8e, v79, -v50
	v_add_f32_e32 v107, v51, v60
	v_fma_f32 v51, 0xbe8c1d8e, v76, -v47
	v_mul_f32_e32 v117, 0x3f7ee86f, v74
	v_fmac_f32_e32 v47, 0xbe8c1d8e, v76
	v_add_f32_e32 v112, v48, v66
	v_fmamk_f32 v48, v79, 0x3dbcf732, v49
	v_add_f32_e32 v114, v46, v73
	v_sub_f32_e32 v46, v3, v65
	v_add_f32_e32 v102, v54, v69
	v_fma_f32 v50, 0x3dbcf732, v76, -v117
	v_add_f32_e32 v113, v47, v67
	v_sub_f32_e32 v47, v2, v64
	v_add_f32_e32 v116, v48, v77
	v_add_f32_e32 v48, v64, v2
	v_mul_f32_e32 v69, 0xbeb8f4ab, v46
	v_add_f32_e32 v111, v51, v71
	v_add_f32_e32 v115, v50, v75
	;; [unrolled: 1-line block ×3, first 2 shown]
	v_mul_f32_e32 v80, 0xbeb8f4ab, v47
	v_sub_f32_e32 v87, v25, v7
	v_fmamk_f32 v50, v48, 0x3f6eb680, v69
	v_sub_f32_e32 v92, v24, v6
	v_fmac_f32_e32 v72, 0xbe8c1d8e, v81
	v_fma_f32 v118, 0x3dbcf732, v79, -v49
	v_fma_f32 v52, 0x3f6eb680, v51, -v80
	v_add_f32_e32 v49, v6, v24
	v_mul_f32_e32 v70, 0xbf2c7751, v87
	v_add_f32_e32 v54, v50, v0
	v_add_f32_e32 v50, v7, v25
	v_mul_f32_e32 v82, 0xbf2c7751, v92
	v_sub_f32_e32 v88, v27, v5
	v_add_f32_e32 v96, v72, v57
	v_add_f32_e32 v55, v52, v1
	v_fmamk_f32 v56, v49, 0x3f3d2fb0, v70
	v_sub_f32_e32 v93, v26, v4
	v_fma_f32 v57, 0x3f3d2fb0, v50, -v82
	v_add_f32_e32 v52, v4, v26
	v_mul_f32_e32 v71, 0xbf65296c, v88
	v_fmac_f32_e32 v117, 0x3dbcf732, v76
	v_add_f32_e32 v53, v5, v27
	v_mul_f32_e32 v76, 0xbf65296c, v93
	v_add_f32_e32 v56, v56, v54
	v_add_f32_e32 v57, v57, v55
	v_sub_f32_e32 v89, v17, v11
	v_fmamk_f32 v55, v52, 0x3ee437d1, v71
	v_sub_f32_e32 v95, v16, v10
	v_fma_f32 v58, 0x3ee437d1, v53, -v76
	v_add_f32_e32 v54, v10, v16
	v_mul_f32_e32 v72, 0xbf7ee86f, v89
	v_add_f32_e32 v59, v55, v56
	v_add_f32_e32 v55, v11, v17
	v_mul_f32_e32 v78, 0xbf7ee86f, v95
	v_sub_f32_e32 v91, v19, v9
	v_add_f32_e32 v58, v58, v57
	v_fmamk_f32 v60, v54, 0x3dbcf732, v72
	v_sub_f32_e32 v94, v18, v8
	v_fma_f32 v61, 0x3dbcf732, v55, -v78
	v_add_f32_e32 v56, v8, v18
	v_mul_f32_e32 v73, 0xbf763a35, v91
	v_sub_f32_e32 v90, v29, v15
	v_add_f32_e32 v57, v9, v19
	v_mul_f32_e32 v79, 0xbf763a35, v94
	v_add_f32_e32 v59, v60, v59
	v_add_f32_e32 v60, v61, v58
	v_fmamk_f32 v61, v56, 0xbe8c1d8e, v73
	v_sub_f32_e32 v97, v28, v14
	v_add_f32_e32 v58, v14, v28
	v_mul_f32_e32 v74, 0xbf4c4adb, v90
	v_sub_f32_e32 v85, v31, v13
	v_fma_f32 v66, 0xbe8c1d8e, v57, -v79
	v_add_f32_e32 v67, v61, v59
	v_add_f32_e32 v59, v15, v29
	v_mul_f32_e32 v81, 0xbf4c4adb, v97
	v_fmamk_f32 v68, v58, 0xbf1a4643, v74
	v_sub_f32_e32 v101, v30, v12
	v_add_f32_e32 v61, v12, v30
	v_mul_f32_e32 v75, 0xbf06c442, v85
	v_add_f32_e32 v60, v66, v60
	v_fma_f32 v77, 0xbf1a4643, v59, -v81
	v_add_f32_e32 v66, v13, v31
	v_mul_f32_e32 v83, 0xbf06c442, v101
	v_add_f32_e32 v68, v68, v67
	v_sub_f32_e32 v86, v21, v23
	v_fmamk_f32 v84, v61, 0xbf59a7d5, v75
	v_sub_f32_e32 v104, v20, v22
	v_add_f32_e32 v60, v77, v60
	v_fma_f32 v119, 0xbf59a7d5, v66, -v83
	v_add_f32_e32 v67, v22, v20
	v_mul_f32_e32 v77, 0xbe3c28d5, v86
	v_add_f32_e32 v120, v84, v68
	v_add_f32_e32 v68, v23, v21
	v_mul_f32_e32 v84, 0xbe3c28d5, v104
	v_add_f32_e32 v119, v119, v60
	v_fmamk_f32 v121, v67, 0xbf7ba420, v77
	v_mul_lo_u16 v122, v244, 17
	v_mov_b32_e32 v60, 3
	v_fma_f32 v123, 0xbf7ba420, v68, -v84
	v_add_f32_e32 v117, v117, v96
	v_add_f32_e32 v245, v121, v120
	v_add_f32_e32 v118, v118, v100
	v_lshlrev_b32_sdwa v196, v60, v122 dst_sel:DWORD dst_unused:UNUSED_PAD src0_sel:DWORD src1_sel:WORD_0
	v_add_f32_e32 v246, v123, v119
	s_barrier
	buffer_gl0_inv
	ds_write2_b64 v196, v[62:63], v[32:33] offset1:1
	ds_write2_b64 v196, v[36:37], v[40:41] offset0:2 offset1:3
	ds_write2_b64 v196, v[44:45], v[102:103] offset0:4 offset1:5
	;; [unrolled: 1-line block ×7, first 2 shown]
	ds_write_b64 v196, v[34:35] offset:128
	s_and_saveexec_b32 s0, vcc_lo
	s_cbranch_execz .LBB0_7
; %bb.6:
	v_mul_f32_e32 v34, 0xbf59a7d5, v51
	v_mul_f32_e32 v36, 0x3ee437d1, v50
	;; [unrolled: 1-line block ×5, first 2 shown]
	v_fmamk_f32 v32, v47, 0x3f06c442, v34
	v_fmamk_f32 v33, v92, 0xbf65296c, v36
	v_mul_f32_e32 v40, 0xbf06c442, v46
	v_mul_f32_e32 v41, 0xbf7ba420, v59
	;; [unrolled: 1-line block ×3, first 2 shown]
	v_add_f32_e32 v32, v32, v1
	v_mul_f32_e32 v43, 0x3f3d2fb0, v66
	v_fmamk_f32 v35, v48, 0xbf59a7d5, v40
	v_mul_f32_e32 v45, 0xbf7ee86f, v88
	v_fmamk_f32 v44, v49, 0x3ee437d1, v42
	v_add_f32_e32 v32, v33, v32
	v_fmamk_f32 v33, v93, 0x3f7ee86f, v37
	v_add_f32_e32 v35, v35, v0
	v_mul_f32_e32 v113, 0x3f4c4adb, v89
	v_mul_f32_e32 v115, 0xbf7ba420, v51
	;; [unrolled: 1-line block ×3, first 2 shown]
	v_add_f32_e32 v32, v33, v32
	v_fmamk_f32 v33, v95, 0xbf4c4adb, v38
	v_add_f32_e32 v35, v44, v35
	v_fmamk_f32 v44, v52, 0x3dbcf732, v45
	v_fmamk_f32 v117, v47, 0x3e3c28d5, v115
	v_mul_f32_e32 v119, 0xbe3c28d5, v90
	v_add_f32_e32 v32, v33, v32
	v_fmamk_f32 v33, v94, 0x3eb8f4ab, v39
	v_mul_f32_e32 v114, 0xbe8c1d8e, v68
	v_add_f32_e32 v117, v117, v1
	;; [unrolled: 3-line block ×3, first 2 shown]
	v_fmamk_f32 v33, v97, 0x3e3c28d5, v41
	v_mul_f32_e32 v122, 0x3f2c7751, v85
	v_fmamk_f32 v116, v104, 0x3f763a35, v114
	v_add_f32_e32 v117, v120, v117
	v_fmamk_f32 v120, v93, 0x3f06c442, v121
	v_add_f32_e32 v32, v33, v32
	v_fmamk_f32 v33, v101, 0xbf2c7751, v43
	v_mul_f32_e32 v123, 0x3f3d2fb0, v55
	v_fmamk_f32 v124, v61, 0x3f3d2fb0, v122
	v_mul_f32_e32 v125, 0x3ee437d1, v59
	v_mul_f32_e32 v128, 0x3eb8f4ab, v87
	v_add_f32_e32 v32, v33, v32
	v_add_f32_e32 v33, v44, v35
	v_fmamk_f32 v35, v54, 0xbf1a4643, v113
	v_mul_f32_e32 v44, 0xbeb8f4ab, v91
	v_mul_f32_e32 v129, 0xbe8c1d8e, v66
	v_fmamk_f32 v130, v49, 0x3f6eb680, v128
	v_mul_f32_e32 v131, 0xbf06c442, v88
	v_add_f32_e32 v33, v35, v33
	v_fmamk_f32 v35, v56, 0x3f6eb680, v44
	v_fmamk_f32 v132, v101, 0x3f763a35, v129
	v_fmac_f32_e32 v115, 0xbe3c28d5, v47
	v_fmac_f32_e32 v118, 0x3eb8f4ab, v92
	v_mul_f32_e32 v135, 0x3f65296c, v90
	v_add_f32_e32 v33, v35, v33
	v_fmamk_f32 v35, v58, 0xbf7ba420, v119
	v_add_f32_e32 v115, v115, v1
	v_fmac_f32_e32 v121, 0xbf06c442, v93
	v_fmac_f32_e32 v34, 0xbf06c442, v47
	;; [unrolled: 1-line block ×3, first 2 shown]
	v_add_f32_e32 v35, v35, v33
	v_add_f32_e32 v33, v116, v32
	;; [unrolled: 1-line block ×3, first 2 shown]
	v_fmamk_f32 v116, v95, 0xbf2c7751, v123
	v_mul_f32_e32 v117, 0xbf1a4643, v57
	v_add_f32_e32 v35, v124, v35
	v_mul_f32_e32 v124, 0xbe3c28d5, v46
	v_mul_f32_e32 v120, 0xbf763a35, v86
	v_add_f32_e32 v32, v116, v32
	v_fmamk_f32 v116, v94, 0x3f4c4adb, v117
	v_add_f32_e32 v115, v118, v115
	v_fmamk_f32 v127, v48, 0xbf7ba420, v124
	v_fmamk_f32 v126, v67, 0xbe8c1d8e, v120
	v_fma_f32 v124, 0xbf7ba420, v48, -v124
	v_add_f32_e32 v32, v116, v32
	v_fmamk_f32 v116, v97, 0xbf65296c, v125
	v_add_f32_e32 v127, v127, v0
	v_fmamk_f32 v118, v58, 0x3ee437d1, v135
	v_add_f32_e32 v115, v121, v115
	v_fmac_f32_e32 v123, 0x3f2c7751, v95
	v_add_f32_e32 v116, v116, v32
	v_add_f32_e32 v32, v126, v35
	;; [unrolled: 1-line block ×3, first 2 shown]
	v_fmamk_f32 v126, v52, 0xbf59a7d5, v131
	v_mul_f32_e32 v127, 0x3f2c7751, v89
	v_add_f32_e32 v116, v132, v116
	v_mul_f32_e32 v130, 0x3dbcf732, v68
	v_mul_f32_e32 v132, 0xbf4c4adb, v91
	v_add_f32_e32 v35, v126, v35
	v_fmamk_f32 v126, v54, 0x3f3d2fb0, v127
	v_add_f32_e32 v121, v124, v0
	v_fmamk_f32 v133, v104, 0xbf7ee86f, v130
	v_fmamk_f32 v134, v56, 0xbf1a4643, v132
	v_fma_f32 v124, 0x3f6eb680, v49, -v128
	v_add_f32_e32 v126, v126, v35
	v_add_f32_e32 v115, v123, v115
	;; [unrolled: 1-line block ×3, first 2 shown]
	v_fma_f32 v123, 0xbf59a7d5, v52, -v131
	v_add_f32_e32 v121, v124, v121
	v_add_f32_e32 v116, v134, v126
	v_mul_f32_e32 v126, 0xbf763a35, v85
	v_add_f32_e32 v124, v34, v1
	v_fmac_f32_e32 v117, 0xbf4c4adb, v94
	v_add_f32_e32 v121, v123, v121
	v_add_f32_e32 v116, v118, v116
	v_fmamk_f32 v118, v61, 0xbe8c1d8e, v126
	v_fma_f32 v123, 0x3f3d2fb0, v54, -v127
	v_add_f32_e32 v36, v36, v124
	v_fmac_f32_e32 v37, 0xbf7ee86f, v93
	v_fma_f32 v40, 0xbf59a7d5, v48, -v40
	v_add_f32_e32 v116, v118, v116
	v_mul_f32_e32 v118, 0x3f7ee86f, v86
	v_add_f32_e32 v115, v117, v115
	v_add_f32_e32 v121, v123, v121
	v_fma_f32 v123, 0xbf1a4643, v56, -v132
	v_add_f32_e32 v36, v37, v36
	v_fmamk_f32 v117, v67, 0x3dbcf732, v118
	v_fmac_f32_e32 v38, 0x3f4c4adb, v95
	v_add_f32_e32 v37, v40, v0
	v_fma_f32 v40, 0x3ee437d1, v49, -v42
	v_fmac_f32_e32 v39, 0xbeb8f4ab, v94
	v_add_f32_e32 v34, v117, v116
	v_add_f32_e32 v116, v123, v121
	v_fma_f32 v117, 0x3ee437d1, v58, -v135
	v_add_f32_e32 v36, v38, v36
	v_add_f32_e32 v40, v40, v37
	v_fma_f32 v45, 0x3dbcf732, v52, -v45
	v_fma_f32 v38, 0xbe8c1d8e, v61, -v126
	v_add_f32_e32 v42, v117, v116
	v_add_f32_e32 v36, v39, v36
	v_fmac_f32_e32 v41, 0xbe3c28d5, v97
	v_add_f32_e32 v39, v45, v40
	v_fma_f32 v40, 0xbf1a4643, v54, -v113
	v_add_f32_e32 v38, v38, v42
	v_fma_f32 v42, 0x3dbcf732, v67, -v118
	v_add_f32_e32 v41, v41, v36
	v_fmac_f32_e32 v43, 0x3f2c7751, v101
	v_mul_f32_e32 v121, 0xbf4c4adb, v47
	v_add_f32_e32 v39, v40, v39
	v_fma_f32 v40, 0x3f6eb680, v56, -v44
	v_add_f32_e32 v36, v42, v38
	v_add_f32_e32 v38, v43, v41
	v_fmamk_f32 v41, v51, 0xbf1a4643, v121
	v_mul_f32_e32 v123, 0x3f763a35, v92
	v_add_f32_e32 v39, v40, v39
	v_fma_f32 v40, 0xbf7ba420, v58, -v119
	v_fmac_f32_e32 v114, 0xbf763a35, v104
	v_add_f32_e32 v41, v41, v1
	v_fmamk_f32 v42, v50, 0xbe8c1d8e, v123
	v_mul_f32_e32 v124, 0xbeb8f4ab, v93
	v_add_f32_e32 v40, v40, v39
	v_fma_f32 v43, 0x3f3d2fb0, v61, -v122
	v_fmac_f32_e32 v125, 0x3f65296c, v97
	v_add_f32_e32 v39, v114, v38
	v_add_f32_e32 v38, v42, v41
	v_fmamk_f32 v41, v53, 0x3f6eb680, v124
	v_mul_f32_e32 v122, 0xbf06c442, v95
	v_add_f32_e32 v40, v43, v40
	v_fma_f32 v42, 0xbe8c1d8e, v67, -v120
	v_mul_f32_e32 v120, 0xbf4c4adb, v46
	v_add_f32_e32 v115, v125, v115
	v_add_f32_e32 v41, v41, v38
	v_fmamk_f32 v43, v55, 0xbf59a7d5, v122
	v_mul_f32_e32 v125, 0x3f7ee86f, v94
	v_add_f32_e32 v38, v42, v40
	v_fma_f32 v40, 0xbf1a4643, v48, -v120
	v_mul_f32_e32 v119, 0x3f763a35, v87
	v_fmac_f32_e32 v129, 0xbf763a35, v101
	v_add_f32_e32 v41, v43, v41
	v_fmamk_f32 v42, v57, 0x3dbcf732, v125
	v_mul_f32_e32 v126, 0xbf2c7751, v97
	v_add_f32_e32 v40, v40, v0
	v_fma_f32 v43, 0xbe8c1d8e, v49, -v119
	v_mul_f32_e32 v113, 0xbeb8f4ab, v88
	v_add_f32_e32 v115, v129, v115
	v_fmac_f32_e32 v130, 0x3f7ee86f, v104
	v_add_f32_e32 v41, v42, v41
	v_fmamk_f32 v42, v59, 0x3f3d2fb0, v126
	v_mul_f32_e32 v127, 0xbe3c28d5, v101
	v_add_f32_e32 v40, v43, v40
	v_fma_f32 v43, 0x3f6eb680, v52, -v113
	v_mul_f32_e32 v114, 0xbf06c442, v89
	v_add_f32_e32 v37, v130, v115
	v_add_f32_e32 v41, v42, v41
	v_fmamk_f32 v42, v66, 0xbf7ba420, v127
	v_mul_f32_e32 v128, 0x3f65296c, v104
	v_add_f32_e32 v40, v43, v40
	v_fma_f32 v43, 0xbf59a7d5, v54, -v114
	v_mul_f32_e32 v115, 0x3f7ee86f, v91
	v_add_f32_e32 v41, v42, v41
	v_fmamk_f32 v42, v68, 0x3ee437d1, v128
	v_mul_f32_e32 v129, 0xbf763a35, v47
	v_add_f32_e32 v40, v43, v40
	v_fma_f32 v43, 0x3dbcf732, v56, -v115
	v_mul_f32_e32 v116, 0xbf2c7751, v90
	;; [unrolled: 6-line block ×23, first 2 shown]
	v_mul_f32_e32 v112, 0x3f3d2fb0, v50
	v_add_f32_e32 v146, v164, v146
	v_fmamk_f32 v164, v59, 0x3f6eb680, v171
	v_mul_f32_e32 v174, 0xbf7ee86f, v101
	v_add_f32_e32 v154, v172, v154
	v_fma_f32 v172, 0xbf7ba420, v52, -v173
	v_mul_f32_e32 v175, 0x3f763a35, v89
	v_add_f32_e32 v146, v164, v146
	v_fmamk_f32 v164, v66, 0x3dbcf732, v174
	v_mul_f32_e32 v176, 0xbf06c442, v104
	v_add_f32_e32 v154, v172, v154
	v_fma_f32 v172, 0xbe8c1d8e, v54, -v175
	v_mul_f32_e32 v177, 0x3f2c7751, v91
	v_add_f32_e32 v82, v82, v112
	v_add_f32_e32 v112, v3, v1
	v_add_f32_e32 v146, v164, v146
	v_fmamk_f32 v164, v68, 0xbf59a7d5, v176
	v_mul_f32_e32 v178, 0xbf2c7751, v47
	v_add_f32_e32 v154, v172, v154
	v_fma_f32 v172, 0x3f3d2fb0, v56, -v177
	v_mul_f32_e32 v179, 0xbeb8f4ab, v90
	v_add_f32_e32 v25, v25, v112
	v_add_f32_e32 v2, v2, v0
	;; [unrolled: 8-line block ×7, first 2 shown]
	v_mul_f32_e32 v111, 0x3f6eb680, v51
	v_add_f32_e32 v146, v164, v146
	v_fmamk_f32 v164, v59, 0xbe8c1d8e, v97
	v_mul_f32_e32 v101, 0x3f65296c, v101
	v_add_f32_e32 v154, v180, v154
	v_fma_f32 v180, 0xbf1a4643, v52, -v88
	v_mul_f32_e32 v89, 0xbe3c28d5, v89
	v_add_f32_e32 v17, v21, v17
	v_add_f32_e32 v18, v30, v18
	;; [unrolled: 1-line block ×3, first 2 shown]
	v_fmamk_f32 v164, v66, 0x3ee437d1, v101
	v_mul_f32_e32 v104, 0x3eb8f4ab, v104
	v_add_f32_e32 v154, v180, v154
	v_fma_f32 v180, 0xbf7ba420, v54, -v89
	v_mul_f32_e32 v91, 0x3f06c442, v91
	v_add_f32_e32 v80, v80, v111
	v_add_f32_e32 v17, v23, v17
	v_add_f32_e32 v18, v20, v18
	v_mul_f32_e32 v107, 0x3ee437d1, v53
	v_add_f32_e32 v146, v164, v146
	v_fmamk_f32 v111, v68, 0x3f6eb680, v104
	v_add_f32_e32 v154, v180, v154
	v_fma_f32 v164, 0xbf59a7d5, v56, -v91
	v_mul_f32_e32 v90, 0x3f763a35, v90
	v_add_f32_e32 v80, v80, v1
	v_add_f32_e32 v13, v13, v17
	;; [unrolled: 1-line block ×3, first 2 shown]
	v_fma_f32 v18, 0xbf1a4643, v51, -v121
	v_mul_f32_e32 v108, 0x3dbcf732, v55
	v_add_f32_e32 v3, v111, v146
	v_add_f32_e32 v111, v164, v154
	v_fma_f32 v146, 0xbe8c1d8e, v58, -v90
	v_add_f32_e32 v80, v82, v80
	v_add_f32_e32 v76, v76, v107
	v_mul_f32_e32 v85, 0x3f65296c, v85
	v_add_f32_e32 v13, v15, v13
	v_add_f32_e32 v12, v12, v17
	v_add_f32_e32 v15, v18, v1
	v_fma_f32 v17, 0xbe8c1d8e, v50, -v123
	v_mul_f32_e32 v109, 0xbe8c1d8e, v57
	v_add_f32_e32 v82, v146, v111
	v_add_f32_e32 v24, v76, v80
	v_add_f32_e32 v27, v78, v108
	v_fma_f32 v76, 0x3ee437d1, v61, -v85
	;; [unrolled: 5-line block ×3, first 2 shown]
	v_mul_f32_e32 v103, 0x3f6eb680, v48
	v_mul_f32_e32 v105, 0xbf1a4643, v59
	v_add_f32_e32 v24, v27, v24
	v_add_f32_e32 v26, v79, v109
	;; [unrolled: 1-line block ×3, first 2 shown]
	v_fma_f32 v19, 0x3f6eb680, v67, -v25
	v_add_f32_e32 v9, v11, v9
	v_add_f32_e32 v8, v8, v12
	;; [unrolled: 1-line block ×3, first 2 shown]
	v_fma_f32 v12, 0xbf59a7d5, v55, -v122
	v_mul_f32_e32 v99, 0x3f3d2fb0, v49
	v_mul_f32_e32 v106, 0xbf59a7d5, v66
	v_add_f32_e32 v24, v26, v24
	v_add_f32_e32 v26, v81, v105
	;; [unrolled: 1-line block ×3, first 2 shown]
	v_sub_f32_e32 v16, v103, v69
	v_add_f32_e32 v5, v5, v9
	v_add_f32_e32 v8, v10, v8
	;; [unrolled: 1-line block ×3, first 2 shown]
	v_fma_f32 v10, 0x3dbcf732, v57, -v125
	v_mul_f32_e32 v100, 0x3ee437d1, v52
	v_mul_f32_e32 v110, 0xbf7ba420, v68
	v_add_f32_e32 v19, v26, v24
	v_add_f32_e32 v24, v83, v106
	;; [unrolled: 1-line block ×3, first 2 shown]
	v_sub_f32_e32 v21, v99, v70
	v_add_f32_e32 v5, v7, v5
	v_add_f32_e32 v4, v4, v8
	;; [unrolled: 1-line block ×3, first 2 shown]
	v_fma_f32 v8, 0x3f3d2fb0, v59, -v126
	v_fmac_f32_e32 v120, 0xbf1a4643, v48
	v_mul_f32_e32 v98, 0x3dbcf732, v54
	v_add_f32_e32 v19, v24, v19
	v_add_f32_e32 v24, v84, v110
	;; [unrolled: 1-line block ×3, first 2 shown]
	v_sub_f32_e32 v21, v100, v71
	v_add_f32_e32 v4, v6, v4
	v_add_f32_e32 v6, v8, v7
	v_fma_f32 v7, 0xbf7ba420, v66, -v127
	v_add_f32_e32 v8, v120, v0
	v_fmac_f32_e32 v119, 0xbe8c1d8e, v49
	v_fma_f32 v9, 0xbe8c1d8e, v51, -v129
	v_mul_f32_e32 v62, 0xbe8c1d8e, v56
	v_add_f32_e32 v16, v24, v19
	v_add_f32_e32 v19, v21, v20
	v_sub_f32_e32 v20, v98, v72
	v_add_f32_e32 v6, v7, v6
	v_fma_f32 v7, 0x3ee437d1, v68, -v128
	v_add_f32_e32 v8, v119, v8
	v_fmac_f32_e32 v113, 0x3f6eb680, v52
	v_add_f32_e32 v9, v9, v1
	v_fma_f32 v10, 0xbf59a7d5, v50, -v130
	v_fmac_f32_e32 v133, 0xbe8c1d8e, v48
	v_mul_f32_e32 v63, 0xbf1a4643, v58
	v_add_f32_e32 v18, v20, v19
	v_sub_f32_e32 v19, v62, v73
	v_add_f32_e32 v7, v7, v6
	v_add_f32_e32 v6, v113, v8
	;; [unrolled: 1-line block ×3, first 2 shown]
	v_fma_f32 v9, 0x3f3d2fb0, v53, -v131
	v_add_f32_e32 v10, v133, v0
	v_fmac_f32_e32 v135, 0xbf59a7d5, v49
	v_mul_f32_e32 v96, 0xbf59a7d5, v61
	v_add_f32_e32 v15, v19, v18
	v_sub_f32_e32 v17, v63, v74
	v_add_f32_e32 v8, v9, v8
	v_fma_f32 v9, 0x3ee437d1, v55, -v132
	v_add_f32_e32 v10, v135, v10
	v_fmac_f32_e32 v137, 0x3f3d2fb0, v52
	v_mul_f32_e32 v102, 0xbf7ba420, v67
	v_add_f32_e32 v13, v17, v15
	v_sub_f32_e32 v14, v96, v75
	v_add_f32_e32 v8, v9, v8
	v_fma_f32 v9, 0xbf7ba420, v57, -v134
	v_add_f32_e32 v10, v137, v10
	v_fmac_f32_e32 v139, 0x3ee437d1, v54
	v_add_f32_e32 v11, v14, v13
	v_sub_f32_e32 v12, v102, v77
	v_add_f32_e32 v8, v9, v8
	v_fma_f32 v9, 0x3dbcf732, v59, -v136
	v_add_f32_e32 v10, v139, v10
	v_fmac_f32_e32 v141, 0xbf7ba420, v56
	v_add_f32_e32 v15, v12, v11
	v_fmac_f32_e32 v144, 0x3dbcf732, v58
	v_add_f32_e32 v8, v9, v8
	v_fma_f32 v9, 0x3f6eb680, v66, -v138
	v_add_f32_e32 v10, v141, v10
	v_fma_f32 v11, 0x3dbcf732, v51, -v142
	v_fmac_f32_e32 v143, 0x3f6eb680, v61
	v_fma_f32 v12, 0xbf7ba420, v50, -v145
	v_add_f32_e32 v8, v9, v8
	v_fma_f32 v9, 0xbf1a4643, v68, -v140
	v_add_f32_e32 v10, v144, v10
	v_add_f32_e32 v11, v11, v1
	v_fmac_f32_e32 v150, 0x3dbcf732, v48
	v_fmac_f32_e32 v153, 0xbf7ba420, v49
	v_add_f32_e32 v9, v9, v8
	v_add_f32_e32 v8, v143, v10
	;; [unrolled: 1-line block ×3, first 2 shown]
	v_fma_f32 v11, 0xbe8c1d8e, v53, -v147
	v_add_f32_e32 v12, v150, v0
	v_fma_f32 v13, 0x3ee437d1, v51, -v160
	v_fmac_f32_e32 v155, 0xbe8c1d8e, v52
	v_fma_f32 v14, 0xbf1a4643, v50, -v162
	v_add_f32_e32 v10, v11, v10
	v_fma_f32 v11, 0x3f6eb680, v55, -v149
	v_add_f32_e32 v12, v153, v12
	v_add_f32_e32 v13, v13, v1
	v_fmac_f32_e32 v157, 0x3f6eb680, v54
	v_fmac_f32_e32 v159, 0x3ee437d1, v56
	v_add_f32_e32 v10, v11, v10
	v_fma_f32 v11, 0x3ee437d1, v57, -v152
	v_add_f32_e32 v12, v155, v12
	v_add_f32_e32 v13, v14, v13
	v_fma_f32 v14, 0xbf7ba420, v53, -v165
	v_fmac_f32_e32 v161, 0xbf59a7d5, v58
	v_add_f32_e32 v10, v11, v10
	v_fma_f32 v11, 0xbf59a7d5, v59, -v151
	v_add_f32_e32 v12, v157, v12
	v_add_f32_e32 v13, v14, v13
	v_fma_f32 v14, 0xbe8c1d8e, v55, -v167
	v_fmac_f32_e32 v163, 0xbf1a4643, v61
	v_add_f32_e32 v10, v11, v10
	v_fma_f32 v11, 0xbf1a4643, v66, -v156
	v_add_f32_e32 v12, v159, v12
	v_add_f32_e32 v13, v14, v13
	v_fma_f32 v14, 0x3f3d2fb0, v57, -v169
	v_fmac_f32_e32 v168, 0x3ee437d1, v48
	v_add_f32_e32 v10, v11, v10
	v_fma_f32 v11, 0x3f3d2fb0, v68, -v158
	v_add_f32_e32 v12, v161, v12
	v_add_f32_e32 v13, v14, v13
	v_fma_f32 v14, 0x3f6eb680, v59, -v171
	v_fmac_f32_e32 v170, 0xbf1a4643, v49
	v_add_f32_e32 v11, v11, v10
	v_add_f32_e32 v10, v163, v12
	v_fma_f32 v17, 0x3f3d2fb0, v51, -v178
	v_add_f32_e32 v12, v14, v13
	v_fma_f32 v13, 0x3dbcf732, v66, -v174
	v_add_f32_e32 v14, v168, v0
	v_fmac_f32_e32 v182, 0x3f3d2fb0, v48
	v_add_f32_e32 v1, v17, v1
	v_fmac_f32_e32 v87, 0x3dbcf732, v49
	v_add_f32_e32 v12, v13, v12
	v_add_f32_e32 v13, v170, v14
	v_fma_f32 v14, 0x3dbcf732, v50, -v92
	v_add_f32_e32 v0, v182, v0
	v_fmac_f32_e32 v173, 0xbf7ba420, v52
	v_fmac_f32_e32 v88, 0xbf1a4643, v52
	;; [unrolled: 1-line block ×3, first 2 shown]
	v_add_f32_e32 v1, v14, v1
	v_fma_f32 v14, 0xbf1a4643, v53, -v93
	v_add_f32_e32 v0, v87, v0
	v_add_f32_e32 v13, v173, v13
	v_fmac_f32_e32 v175, 0xbe8c1d8e, v54
	v_fmac_f32_e32 v89, 0xbf7ba420, v54
	v_add_f32_e32 v1, v14, v1
	v_fma_f32 v14, 0xbf7ba420, v55, -v95
	v_add_f32_e32 v0, v88, v0
	v_add_f32_e32 v6, v114, v6
	v_fmac_f32_e32 v115, 0x3dbcf732, v56
	v_add_f32_e32 v13, v175, v13
	v_fmac_f32_e32 v177, 0x3f3d2fb0, v56
	v_add_f32_e32 v1, v14, v1
	v_fma_f32 v14, 0xbf59a7d5, v57, -v94
	v_add_f32_e32 v0, v89, v0
	v_fmac_f32_e32 v91, 0xbf59a7d5, v56
	v_add_f32_e32 v6, v115, v6
	v_fmac_f32_e32 v116, 0x3f3d2fb0, v58
	v_add_f32_e32 v13, v177, v13
	v_fmac_f32_e32 v179, 0x3f6eb680, v58
	v_add_f32_e32 v1, v14, v1
	v_fma_f32 v14, 0xbe8c1d8e, v59, -v97
	v_add_f32_e32 v0, v91, v0
	v_fmac_f32_e32 v90, 0xbe8c1d8e, v58
	;; [unrolled: 8-line block ×3, first 2 shown]
	v_mul_u32_u24_e32 v18, 17, v251
	v_add_f32_e32 v5, v65, v5
	v_add_f32_e32 v4, v64, v4
	;; [unrolled: 1-line block ×3, first 2 shown]
	v_fmac_f32_e32 v118, 0x3ee437d1, v67
	v_fmac_f32_e32 v148, 0xbf1a4643, v67
	;; [unrolled: 1-line block ×3, first 2 shown]
	v_fma_f32 v17, 0xbf59a7d5, v68, -v176
	v_add_f32_e32 v13, v172, v13
	v_fmac_f32_e32 v181, 0xbf59a7d5, v67
	v_add_f32_e32 v14, v14, v1
	v_fma_f32 v19, 0x3f6eb680, v68, -v104
	v_add_f32_e32 v20, v85, v0
	v_fmac_f32_e32 v25, 0x3f6eb680, v67
	v_lshlrev_b32_e32 v18, 3, v18
	v_add_f32_e32 v6, v118, v6
	v_add_f32_e32 v8, v148, v8
	;; [unrolled: 1-line block ×7, first 2 shown]
	ds_write2_b64 v18, v[4:5], v[15:16] offset1:1
	ds_write2_b64 v18, v[2:3], v[46:47] offset0:2 offset1:3
	ds_write2_b64 v18, v[44:45], v[42:43] offset0:4 offset1:5
	;; [unrolled: 1-line block ×7, first 2 shown]
	ds_write_b64 v18, v[245:246] offset:128
.LBB0_7:
	s_or_b32 exec_lo, exec_lo, s0
	v_add_co_u32 v108, null, 0x132, v244
	v_mov_b32_e32 v20, 0xf0f1
	v_add_co_u32 v109, null, 0x165, v244
	v_add_co_u32 v116, null, 0x198, v244
	v_mul_u32_u24_sdwa v0, v108, v20 dst_sel:DWORD dst_unused:UNUSED_PAD src0_sel:WORD_0 src1_sel:DWORD
	v_mul_u32_u24_sdwa v1, v109, v20 dst_sel:DWORD dst_unused:UNUSED_PAD src0_sel:WORD_0 src1_sel:DWORD
	v_add_co_u32 v117, null, 0x1cb, v244
	v_add_co_u32 v124, null, 0x1fe, v244
	v_lshrrev_b32_e32 v28, 20, v0
	v_mul_u32_u24_sdwa v0, v116, v20 dst_sel:DWORD dst_unused:UNUSED_PAD src0_sel:WORD_0 src1_sel:DWORD
	v_lshrrev_b32_e32 v29, 20, v1
	v_mul_u32_u24_sdwa v8, v124, v20 dst_sel:DWORD dst_unused:UNUSED_PAD src0_sel:WORD_0 src1_sel:DWORD
	s_waitcnt lgkmcnt(0)
	v_mul_lo_u16 v1, v28, 17
	v_lshrrev_b32_e32 v18, 20, v0
	v_mul_lo_u16 v2, v29, 17
	v_mul_u32_u24_sdwa v0, v117, v20 dst_sel:DWORD dst_unused:UNUSED_PAD src0_sel:WORD_0 src1_sel:DWORD
	v_lshrrev_b32_e32 v16, 20, v8
	v_sub_nc_u16 v32, v108, v1
	v_mul_lo_u16 v1, v18, 17
	v_sub_nc_u16 v33, v109, v2
	v_lshrrev_b32_e32 v19, 20, v0
	s_barrier
	v_lshlrev_b16 v2, 1, v32
	v_sub_nc_u16 v31, v116, v1
	v_lshlrev_b16 v3, 1, v33
	v_mul_lo_u16 v9, v19, 17
	buffer_gl0_inv
	v_lshlrev_b32_sdwa v0, v60, v2 dst_sel:DWORD dst_unused:UNUSED_PAD src0_sel:DWORD src1_sel:WORD_0
	v_lshlrev_b16 v10, 1, v31
	v_lshlrev_b32_sdwa v4, v60, v3 dst_sel:DWORD dst_unused:UNUSED_PAD src0_sel:DWORD src1_sel:WORD_0
	v_sub_nc_u16 v30, v117, v9
	s_clause 0x1
	global_load_dwordx4 v[0:3], v0, s[2:3]
	global_load_dwordx4 v[4:7], v4, s[2:3]
	v_lshlrev_b32_sdwa v8, v60, v10 dst_sel:DWORD dst_unused:UNUSED_PAD src0_sel:DWORD src1_sel:WORD_0
	v_mul_lo_u16 v12, v16, 17
	v_lshlrev_b16 v13, 1, v30
	v_add_co_u32 v100, null, 0xff, v244
	global_load_dwordx4 v[8:11], v8, s[2:3]
	v_sub_nc_u16 v17, v124, v12
	v_lshlrev_b32_sdwa v12, v60, v13 dst_sel:DWORD dst_unused:UNUSED_PAD src0_sel:DWORD src1_sel:WORD_0
	v_mul_u32_u24_sdwa v24, v100, v20 dst_sel:DWORD dst_unused:UNUSED_PAD src0_sel:WORD_0 src1_sel:DWORD
	v_add_nc_u32_e32 v188, 0x2800, v249
	v_add_nc_u32_e32 v174, 0x1800, v249
	v_lshlrev_b16 v21, 1, v17
	global_load_dwordx4 v[12:15], v12, s[2:3]
	v_lshrrev_b32_e32 v37, 20, v24
	v_add_nc_u32_e32 v176, 0x2c00, v249
	v_add_nc_u32_e32 v175, 0x1c00, v249
	v_lshlrev_b32_sdwa v21, v60, v21 dst_sel:DWORD dst_unused:UNUSED_PAD src0_sel:DWORD src1_sel:WORD_0
	v_add_co_u32 v101, null, 0xcc, v244
	v_mul_lo_u16 v24, v37, 17
	v_add_nc_u32_e32 v177, 0x2000, v249
	global_load_dwordx4 v[20:23], v21, s[2:3]
	v_add_co_u32 v92, null, 0x99, v244
	v_sub_nc_u16 v38, v100, v24
	v_add_co_u32 v93, null, 0x66, v244
	v_add_nc_u32_e32 v180, 0x1000, v249
	v_add_nc_u32_e32 v178, 0xc00, v249
	v_lshlrev_b16 v24, 1, v38
	v_add_nc_u32_e32 v179, 0x800, v249
	v_mad_u16 v28, v28, 51, v32
	v_mad_u16 v18, v18, 51, v31
	v_mad_u16 v30, v19, 51, v30
	v_lshlrev_b32_sdwa v24, v60, v24 dst_sel:DWORD dst_unused:UNUSED_PAD src0_sel:DWORD src1_sel:WORD_0
	v_mad_u16 v16, v16, 51, v17
	v_lshlrev_b32_e32 v100, 4, v100
	v_lshlrev_b32_e32 v108, 4, v108
	;; [unrolled: 1-line block ×3, first 2 shown]
	global_load_dwordx4 v[24:27], v24, s[2:3]
	ds_read2_b64 v[39:42], v188 offset0:148 offset1:199
	ds_read2_b64 v[43:46], v174 offset0:150 offset1:201
	;; [unrolled: 1-line block ×5, first 2 shown]
	v_lshlrev_b32_e32 v124, 4, v124
	s_waitcnt vmcnt(5) lgkmcnt(4)
	v_mul_f32_e32 v34, v40, v3
	s_waitcnt vmcnt(4)
	v_mul_f32_e32 v35, v42, v7
	v_mul_f32_e32 v67, v39, v3
	s_waitcnt lgkmcnt(3)
	v_mul_f32_e32 v36, v44, v5
	v_mul_f32_e32 v96, v41, v7
	v_fma_f32 v97, v39, v2, -v34
	v_fma_f32 v98, v41, v6, -v35
	s_waitcnt vmcnt(3)
	v_mul_f32_e32 v34, v46, v9
	v_and_b32_e32 v35, 0xff, v101
	v_fmac_f32_e32 v67, v40, v2
	v_mul_f32_e32 v102, v45, v9
	v_fma_f32 v103, v43, v4, -v36
	v_fma_f32 v104, v45, v8, -v34
	s_waitcnt lgkmcnt(2)
	v_mul_f32_e32 v34, v48, v11
	v_mul_f32_e32 v105, v47, v11
	s_waitcnt vmcnt(2)
	v_mul_f32_e32 v36, v50, v15
	v_mul_f32_e32 v40, v49, v15
	v_mul_lo_u16 v41, 0xf1, v35
	v_fma_f32 v47, v47, v10, -v34
	s_waitcnt lgkmcnt(1)
	v_mul_f32_e32 v34, v52, v13
	v_fmac_f32_e32 v96, v42, v6
	v_mul_f32_e32 v99, v43, v5
	buffer_store_dword v4, off, s[20:23], 0 offset:160 ; 4-byte Folded Spill
	buffer_store_dword v5, off, s[20:23], 0 offset:164 ; 4-byte Folded Spill
	;; [unrolled: 1-line block ×4, first 2 shown]
	v_fmac_f32_e32 v102, v46, v8
	buffer_store_dword v8, off, s[20:23], 0 offset:176 ; 4-byte Folded Spill
	buffer_store_dword v9, off, s[20:23], 0 offset:180 ; 4-byte Folded Spill
	;; [unrolled: 1-line block ×4, first 2 shown]
	v_fma_f32 v39, v49, v14, -v36
	v_fmac_f32_e32 v40, v50, v14
	v_mul_f32_e32 v42, v51, v13
	v_lshrrev_b16 v106, 12, v41
	v_fma_f32 v41, v51, v12, -v34
	buffer_store_dword v12, off, s[20:23], 0 offset:192 ; 4-byte Folded Spill
	buffer_store_dword v13, off, s[20:23], 0 offset:196 ; 4-byte Folded Spill
	;; [unrolled: 1-line block ×4, first 2 shown]
	s_waitcnt vmcnt(1)
	v_mul_f32_e32 v36, v54, v21
	s_waitcnt lgkmcnt(0)
	v_mul_f32_e32 v110, v63, v1
	v_mul_f32_e32 v35, v53, v21
	v_add_f32_e32 v31, v104, v47
	v_fma_f32 v34, v53, v20, -v36
	v_mul_lo_u16 v36, v106, 17
	v_fmac_f32_e32 v35, v54, v20
	s_waitcnt vmcnt(0)
	v_mul_f32_e32 v113, v61, v25
	v_sub_nc_u16 v36, v101, v36
	v_lshlrev_b32_e32 v101, 4, v101
	v_fmac_f32_e32 v113, v62, v24
	v_and_b32_e32 v107, 0xff, v36
	v_mul_f32_e32 v36, v64, v1
	v_lshlrev_b32_e32 v43, 4, v107
	v_fma_f32 v111, v63, v0, -v36
	v_mul_f32_e32 v36, v62, v25
	buffer_store_dword v0, off, s[20:23], 0 offset:144 ; 4-byte Folded Spill
	buffer_store_dword v1, off, s[20:23], 0 offset:148 ; 4-byte Folded Spill
	;; [unrolled: 1-line block ×4, first 2 shown]
	global_load_dwordx4 v[56:59], v43, s[2:3]
	v_and_b32_e32 v43, 0xff, v251
	v_fma_f32 v112, v61, v24, -v36
	v_and_b32_e32 v36, 0xff, v244
	v_mul_lo_u16 v43, 0xf1, v43
	v_mul_lo_u16 v36, 0xf1, v36
	v_lshrrev_b16 v114, 12, v43
	v_lshrrev_b16 v61, 12, v36
	v_mul_lo_u16 v36, v61, 17
	v_sub_nc_u16 v62, v244, v36
	v_mul_lo_u16 v36, v114, 17
	v_lshlrev_b16 v43, 1, v62
	v_sub_nc_u16 v36, v251, v36
	v_mad_u16 v76, v61, 51, v62
	v_and_b32_e32 v43, 0xfe, v43
	v_and_b32_e32 v115, 0xff, v36
	v_lshlrev_b32_e32 v36, 3, v43
	v_lshlrev_b32_e32 v43, 4, v115
	v_fmac_f32_e32 v99, v44, v4
	v_fmac_f32_e32 v105, v48, v10
	;; [unrolled: 1-line block ×3, first 2 shown]
	s_clause 0x1
	global_load_dwordx4 v[52:55], v43, s[2:3]
	global_load_dwordx4 v[48:51], v36, s[2:3]
	ds_read2_b64 v[43:46], v177 offset0:98 offset1:149
	v_fmac_f32_e32 v110, v64, v0
	v_lshlrev_b32_sdwa v0, v60, v76 dst_sel:DWORD dst_unused:UNUSED_PAD src0_sel:DWORD src1_sel:BYTE_0
	s_waitcnt vmcnt(1) lgkmcnt(0)
	v_mul_f32_e32 v36, v46, v55
	s_waitcnt vmcnt(0)
	v_mul_f32_e32 v66, v43, v51
	v_mul_f32_e32 v119, v45, v55
	v_fma_f32 v118, v45, v54, -v36
	v_mul_f32_e32 v36, v44, v51
	v_fmac_f32_e32 v66, v44, v50
	v_fmac_f32_e32 v119, v46, v54
	v_fma_f32 v65, v43, v50, -v36
	v_and_b32_e32 v36, 0xff, v92
	v_mul_lo_u16 v43, 0xf1, v36
	v_and_b32_e32 v36, 0xff, v93
	v_lshrrev_b16 v121, 12, v43
	v_mul_lo_u16 v44, 0xf1, v36
	v_mul_lo_u16 v36, 0xa1, v36
	v_lshrrev_b16 v120, 12, v44
	v_mul_lo_u16 v44, v121, 17
	v_lshrrev_b16 v36, 13, v36
	v_mul_lo_u16 v43, v120, 17
	v_sub_nc_u16 v44, v92, v44
	v_mul_lo_u16 v36, v36, 51
	v_lshlrev_b32_e32 v92, 4, v92
	v_sub_nc_u16 v43, v93, v43
	v_and_b32_e32 v123, 0xff, v44
	v_sub_nc_u16 v36, v93, v36
	v_lshlrev_b32_e32 v93, 4, v93
	v_and_b32_e32 v122, 0xff, v43
	ds_read2_b64 v[43:46], v180 offset0:100 offset1:151
	s_waitcnt lgkmcnt(0)
	v_mul_f32_e32 v63, v44, v53
	v_mul_f32_e32 v126, v43, v53
	v_fma_f32 v125, v43, v52, -v63
	v_lshlrev_b32_e32 v43, 4, v122
	v_fmac_f32_e32 v126, v44, v52
	v_lshlrev_b32_e32 v44, 4, v123
	s_clause 0x1
	global_load_dwordx4 v[68:71], v43, s[2:3]
	global_load_dwordx4 v[72:75], v44, s[2:3]
	s_waitcnt vmcnt(1)
	v_mul_f32_e32 v43, v46, v69
	v_mul_f32_e32 v128, v45, v69
	v_fma_f32 v127, v45, v68, -v43
	v_fmac_f32_e32 v128, v46, v68
	ds_read2_b64 v[43:46], v177 offset0:200 offset1:251
	s_waitcnt lgkmcnt(0)
	v_mul_f32_e32 v63, v44, v71
	v_mul_f32_e32 v130, v43, v71
	s_waitcnt vmcnt(0)
	v_mul_f32_e32 v132, v45, v75
	v_fma_f32 v129, v43, v70, -v63
	v_mul_f32_e32 v43, v46, v75
	v_fmac_f32_e32 v130, v44, v70
	v_fmac_f32_e32 v132, v46, v74
	v_fma_f32 v131, v45, v74, -v43
	ds_read2_b64 v[43:46], v180 offset0:202 offset1:253
	s_waitcnt lgkmcnt(0)
	v_mul_f32_e32 v63, v44, v73
	v_mul_f32_e32 v134, v43, v73
	;; [unrolled: 1-line block ×3, first 2 shown]
	v_fma_f32 v133, v43, v72, -v63
	v_mul_f32_e32 v43, v46, v57
	v_fmac_f32_e32 v134, v44, v72
	v_fmac_f32_e32 v136, v46, v56
	v_fma_f32 v135, v45, v56, -v43
	ds_read2_b64 v[43:46], v188 offset0:46 offset1:97
	s_waitcnt lgkmcnt(0)
	v_mul_f32_e32 v63, v46, v27
	v_mul_f32_e32 v138, v45, v27
	;; [unrolled: 1-line block ×3, first 2 shown]
	v_fma_f32 v137, v45, v26, -v63
	buffer_store_dword v24, off, s[20:23], 0 offset:228 ; 4-byte Folded Spill
	buffer_store_dword v25, off, s[20:23], 0 offset:232 ; 4-byte Folded Spill
	;; [unrolled: 1-line block ×4, first 2 shown]
	v_mul_f32_e32 v45, v44, v59
	v_fmac_f32_e32 v140, v44, v58
	v_fma_f32 v139, v43, v58, -v45
	v_fmac_f32_e32 v138, v46, v26
	ds_read2_b64 v[43:46], v178 offset0:126 offset1:177
	s_waitcnt lgkmcnt(0)
	v_mul_f32_e32 v61, v46, v49
	v_fma_f32 v77, v45, v48, -v61
	ds_read2_b64 v[61:64], v249 offset1:51
	v_mul_f32_e32 v45, v45, v49
	v_sub_f32_e32 v142, v77, v65
	v_fmac_f32_e32 v45, v46, v48
	v_sub_f32_e32 v141, v45, v66
	v_add_f32_e32 v78, v45, v66
	s_waitcnt lgkmcnt(0)
	v_add_f32_e32 v46, v62, v45
	v_add_f32_e32 v45, v61, v77
	v_fma_f32 v62, -0.5, v78, v62
	v_add_f32_e32 v46, v46, v66
	v_add_f32_e32 v66, v77, v65
	;; [unrolled: 1-line block ×3, first 2 shown]
	ds_read_b64 v[94:95], v249 offset:13056
	ds_read2_b64 v[76:79], v249 offset0:102 offset1:153
	ds_read2_b64 v[80:83], v249 offset0:204 offset1:255
	;; [unrolled: 1-line block ×4, first 2 shown]
	s_waitcnt lgkmcnt(0)
	s_waitcnt_vscnt null, 0x0
	s_barrier
	v_fma_f32 v61, -0.5, v66, v61
	v_fmamk_f32 v66, v142, 0xbf5db3d7, v62
	buffer_gl0_inv
	v_fmac_f32_e32 v62, 0x3f5db3d7, v142
	buffer_store_dword v0, off, s[20:23], 0 offset:224 ; 4-byte Folded Spill
	v_fmamk_f32 v65, v141, 0x3f5db3d7, v61
	v_fmac_f32_e32 v61, 0xbf5db3d7, v141
	ds_write2_b64 v0, v[45:46], v[65:66] offset1:17
	v_add_f32_e32 v45, v64, v126
	ds_write_b64 v0, v[61:62] offset:272
	v_add_f32_e32 v61, v126, v119
	v_add_f32_e32 v62, v125, v118
	v_sub_f32_e32 v66, v125, v118
	v_add_f32_e32 v46, v45, v119
	v_add_f32_e32 v45, v63, v125
	v_sub_f32_e32 v65, v126, v119
	v_fma_f32 v63, -0.5, v62, v63
	v_fmac_f32_e32 v64, -0.5, v61
	v_add_f32_e32 v32, v85, v110
	v_add_f32_e32 v45, v45, v118
	v_mov_b32_e32 v118, 51
	v_fma_f32 v31, -0.5, v31, v88
	v_fmamk_f32 v62, v66, 0xbf5db3d7, v64
	v_fmac_f32_e32 v64, 0x3f5db3d7, v66
	v_sub_f32_e32 v66, v127, v129
	v_mul_u32_u24_sdwa v61, v114, v118 dst_sel:DWORD dst_unused:UNUSED_PAD src0_sel:WORD_0 src1_sel:DWORD
	v_add_lshl_u32 v0, v61, v115, 3
	v_fmamk_f32 v61, v65, 0x3f5db3d7, v63
	v_fmac_f32_e32 v63, 0xbf5db3d7, v65
	v_sub_f32_e32 v65, v128, v130
	buffer_store_dword v0, off, s[20:23], 0 offset:248 ; 4-byte Folded Spill
	ds_write2_b64 v0, v[45:46], v[61:62] offset1:17
	v_add_f32_e32 v45, v77, v128
	v_add_f32_e32 v62, v128, v130
	;; [unrolled: 1-line block ×3, first 2 shown]
	ds_write_b64 v0, v[63:64] offset:272
	v_mul_u32_u24_sdwa v63, v120, v118 dst_sel:DWORD dst_unused:UNUSED_PAD src0_sel:WORD_0 src1_sel:DWORD
	v_add_f32_e32 v46, v45, v130
	v_add_f32_e32 v45, v76, v127
	v_fma_f32 v61, -0.5, v61, v76
	v_fma_f32 v62, -0.5, v62, v77
	v_add_lshl_u32 v0, v63, v122, 3
	v_add_f32_e32 v45, v45, v129
	v_fmamk_f32 v63, v65, 0x3f5db3d7, v61
	v_fmamk_f32 v64, v66, 0xbf5db3d7, v62
	v_fmac_f32_e32 v61, 0xbf5db3d7, v65
	v_fmac_f32_e32 v62, 0x3f5db3d7, v66
	buffer_store_dword v0, off, s[20:23], 0 offset:244 ; 4-byte Folded Spill
	v_sub_f32_e32 v65, v136, v140
	ds_write2_b64 v0, v[45:46], v[63:64] offset1:17
	v_add_f32_e32 v45, v79, v134
	ds_write_b64 v0, v[61:62] offset:272
	v_add_f32_e32 v61, v134, v132
	v_add_f32_e32 v62, v133, v131
	v_sub_f32_e32 v63, v134, v132
	v_add_f32_e32 v46, v45, v132
	v_add_f32_e32 v45, v78, v133
	v_sub_f32_e32 v64, v133, v131
	v_fma_f32 v78, -0.5, v62, v78
	v_fmac_f32_e32 v79, -0.5, v61
	v_mul_u32_u24_sdwa v61, v121, v118 dst_sel:DWORD dst_unused:UNUSED_PAD src0_sel:WORD_0 src1_sel:DWORD
	v_add_f32_e32 v45, v45, v131
	v_sub_f32_e32 v66, v135, v139
	v_fmamk_f32 v62, v64, 0xbf5db3d7, v79
	v_add_lshl_u32 v0, v61, v123, 3
	v_fmamk_f32 v61, v63, 0x3f5db3d7, v78
	v_fmac_f32_e32 v78, 0xbf5db3d7, v63
	v_fmac_f32_e32 v79, 0x3f5db3d7, v64
	v_mul_u32_u24_sdwa v63, v106, v118 dst_sel:DWORD dst_unused:UNUSED_PAD src0_sel:WORD_0 src1_sel:DWORD
	buffer_store_dword v0, off, s[20:23], 0 offset:252 ; 4-byte Folded Spill
	ds_write2_b64 v0, v[45:46], v[61:62] offset1:17
	v_add_f32_e32 v45, v81, v136
	v_add_f32_e32 v62, v136, v140
	;; [unrolled: 1-line block ×3, first 2 shown]
	ds_write_b64 v0, v[78:79] offset:272
	v_add_lshl_u32 v0, v63, v107, 3
	v_add_f32_e32 v46, v45, v140
	v_add_f32_e32 v45, v80, v135
	v_fma_f32 v61, -0.5, v61, v80
	v_fma_f32 v62, -0.5, v62, v81
	buffer_store_dword v0, off, s[20:23], 0 offset:256 ; 4-byte Folded Spill
	v_add_f32_e32 v45, v45, v139
	v_fmamk_f32 v63, v65, 0x3f5db3d7, v61
	v_fmamk_f32 v64, v66, 0xbf5db3d7, v62
	v_fmac_f32_e32 v61, 0xbf5db3d7, v65
	v_fmac_f32_e32 v62, 0x3f5db3d7, v66
	ds_write2_b64 v0, v[45:46], v[63:64] offset1:17
	v_mad_u16 v45, v37, 51, v38
	ds_write_b64 v0, v[61:62] offset:272
	v_add_f32_e32 v37, v83, v113
	v_add_f32_e32 v46, v113, v138
	;; [unrolled: 1-line block ×3, first 2 shown]
	v_sub_f32_e32 v61, v113, v138
	v_sub_f32_e32 v63, v112, v137
	v_add_f32_e32 v38, v37, v138
	v_add_f32_e32 v37, v82, v112
	v_fma_f32 v82, -0.5, v62, v82
	v_fmac_f32_e32 v83, -0.5, v46
	v_lshlrev_b32_sdwa v0, v60, v45 dst_sel:DWORD dst_unused:UNUSED_PAD src0_sel:DWORD src1_sel:WORD_0
	v_sub_f32_e32 v64, v111, v97
	v_add_f32_e32 v37, v37, v137
	v_fmamk_f32 v45, v61, 0x3f5db3d7, v82
	v_fmamk_f32 v46, v63, 0xbf5db3d7, v83
	v_fmac_f32_e32 v82, 0xbf5db3d7, v61
	v_fmac_f32_e32 v83, 0x3f5db3d7, v63
	v_sub_f32_e32 v63, v110, v67
	buffer_store_dword v0, off, s[20:23], 0 offset:264 ; 4-byte Folded Spill
	ds_write2_b64 v0, v[37:38], v[45:46] offset1:17
	v_add_f32_e32 v38, v32, v67
	v_add_f32_e32 v32, v84, v111
	;; [unrolled: 1-line block ×3, first 2 shown]
	ds_write_b64 v0, v[82:83] offset:272
	v_lshlrev_b32_sdwa v0, v60, v28 dst_sel:DWORD dst_unused:UNUSED_PAD src0_sel:DWORD src1_sel:WORD_0
	v_add_f32_e32 v28, v87, v99
	v_add_f32_e32 v37, v32, v97
	;; [unrolled: 1-line block ×3, first 2 shown]
	v_fma_f32 v46, -0.5, v46, v85
	buffer_store_dword v0, off, s[20:23], 0 offset:272 ; 4-byte Folded Spill
	v_fma_f32 v45, -0.5, v32, v84
	v_fmamk_f32 v62, v64, 0xbf5db3d7, v46
	v_fmac_f32_e32 v46, 0x3f5db3d7, v64
	v_mad_u16 v32, v29, 51, v33
	v_add_f32_e32 v33, v99, v96
	v_fmamk_f32 v61, v63, 0x3f5db3d7, v45
	v_fmac_f32_e32 v45, 0xbf5db3d7, v63
	v_add_f32_e32 v29, v28, v96
	v_add_f32_e32 v28, v86, v103
	v_fmac_f32_e32 v87, -0.5, v33
	ds_write2_b64 v0, v[37:38], v[61:62] offset1:17
	v_add_f32_e32 v38, v103, v98
	ds_write_b64 v0, v[45:46] offset:272
	v_sub_f32_e32 v37, v99, v96
	v_sub_f32_e32 v45, v103, v98
	v_add_f32_e32 v28, v28, v98
	v_fma_f32 v86, -0.5, v38, v86
	v_lshlrev_b32_sdwa v0, v60, v32 dst_sel:DWORD dst_unused:UNUSED_PAD src0_sel:DWORD src1_sel:WORD_0
	v_fmamk_f32 v33, v45, 0xbf5db3d7, v87
	v_fmac_f32_e32 v87, 0x3f5db3d7, v45
	v_fmamk_f32 v32, v37, 0x3f5db3d7, v86
	v_fmac_f32_e32 v86, 0xbf5db3d7, v37
	v_sub_f32_e32 v45, v104, v47
	buffer_store_dword v0, off, s[20:23], 0 offset:268 ; 4-byte Folded Spill
	ds_write2_b64 v0, v[28:29], v[32:33] offset1:17
	v_add_f32_e32 v28, v89, v102
	v_add_f32_e32 v32, v102, v105
	v_sub_f32_e32 v33, v102, v105
	ds_write_b64 v0, v[86:87] offset:272
	v_lshlrev_b32_sdwa v0, v60, v18 dst_sel:DWORD dst_unused:UNUSED_PAD src0_sel:DWORD src1_sel:WORD_0
	v_add_f32_e32 v29, v28, v105
	v_add_f32_e32 v28, v88, v104
	v_fma_f32 v32, -0.5, v32, v89
	v_fmamk_f32 v37, v33, 0x3f5db3d7, v31
	v_add_f32_e32 v18, v91, v42
	v_fmac_f32_e32 v31, 0xbf5db3d7, v33
	v_add_f32_e32 v28, v28, v47
	v_fmamk_f32 v38, v45, 0xbf5db3d7, v32
	v_fmac_f32_e32 v32, 0x3f5db3d7, v45
	v_sub_f32_e32 v33, v41, v39
	buffer_store_dword v0, off, s[20:23], 0 offset:296 ; 4-byte Folded Spill
	ds_write2_b64 v0, v[28:29], v[37:38] offset1:17
	v_add_f32_e32 v29, v18, v40
	v_add_f32_e32 v18, v90, v41
	ds_write_b64 v0, v[31:32] offset:272
	v_add_f32_e32 v32, v42, v40
	v_sub_f32_e32 v31, v42, v40
	v_lshlrev_b32_sdwa v0, v60, v30 dst_sel:DWORD dst_unused:UNUSED_PAD src0_sel:DWORD src1_sel:WORD_0
	v_add_f32_e32 v28, v18, v39
	v_add_f32_e32 v18, v41, v39
	v_fmac_f32_e32 v91, -0.5, v32
	v_mad_u64_u32 v[37:38], null, 0x50, v244, s[2:3]
	buffer_store_dword v0, off, s[20:23], 0 offset:292 ; 4-byte Folded Spill
	v_fma_f32 v90, -0.5, v18, v90
	v_fmamk_f32 v19, v33, 0xbf5db3d7, v91
	v_fmac_f32_e32 v91, 0x3f5db3d7, v33
	v_fmamk_f32 v18, v31, 0x3f5db3d7, v90
	v_fmac_f32_e32 v90, 0xbf5db3d7, v31
	ds_write2_b64 v0, v[28:29], v[18:19] offset1:17
	v_mul_f32_e32 v18, v94, v23
	ds_write_b64 v0, v[90:91] offset:272
	v_mul_f32_e32 v19, v95, v23
	v_lshlrev_b32_sdwa v0, v60, v16 dst_sel:DWORD dst_unused:UNUSED_PAD src0_sel:DWORD src1_sel:WORD_0
	v_fmac_f32_e32 v18, v95, v22
	buffer_store_dword v20, off, s[20:23], 0 offset:208 ; 4-byte Folded Spill
	buffer_store_dword v21, off, s[20:23], 0 offset:212 ; 4-byte Folded Spill
	;; [unrolled: 1-line block ×5, first 2 shown]
	v_sub_f32_e32 v29, v35, v18
	v_add_f32_e32 v30, v35, v18
	v_fma_f32 v28, v94, v22, -v19
	v_add_f32_e32 v19, v44, v35
	v_fmac_f32_e32 v44, -0.5, v30
	v_and_b32_e32 v94, 0xff, v36
	v_add_f32_e32 v31, v34, v28
	v_add_f32_e32 v19, v19, v18
	;; [unrolled: 1-line block ×3, first 2 shown]
	v_mad_u64_u32 v[84:85], null, 0x50, v94, s[2:3]
	v_fma_f32 v43, -0.5, v31, v43
	v_add_f32_e32 v18, v18, v28
	v_sub_f32_e32 v28, v34, v28
	v_fmamk_f32 v16, v29, 0x3f5db3d7, v43
	v_fmac_f32_e32 v43, 0xbf5db3d7, v29
	v_fmamk_f32 v17, v28, 0xbf5db3d7, v44
	v_fmac_f32_e32 v44, 0x3f5db3d7, v28
	ds_write2_b64 v0, v[18:19], v[16:17] offset1:17
	ds_write_b64 v0, v[43:44] offset:272
	s_waitcnt lgkmcnt(0)
	s_waitcnt_vscnt null, 0x0
	s_barrier
	buffer_gl0_inv
	s_clause 0x1
	global_load_dwordx4 v[16:19], v[37:38], off offset:272
	global_load_dwordx4 v[28:31], v[37:38], off offset:288
	ds_read2_b64 v[32:35], v179 offset0:50 offset1:101
	s_waitcnt vmcnt(1) lgkmcnt(0)
	v_mul_f32_e32 v39, v33, v19
	v_mul_f32_e32 v91, v32, v19
	;; [unrolled: 1-line block ×3, first 2 shown]
	v_fma_f32 v90, v32, v18, -v39
	v_mul_f32_e32 v32, v35, v19
	v_fmac_f32_e32 v91, v33, v18
	v_fmac_f32_e32 v121, v35, v18
	v_fma_f32 v122, v34, v18, -v32
	ds_read2_b64 v[32:35], v180 offset0:100 offset1:151
	s_waitcnt vmcnt(0) lgkmcnt(0)
	v_mul_f32_e32 v39, v33, v31
	v_mul_f32_e32 v253, v32, v31
	;; [unrolled: 1-line block ×3, first 2 shown]
	v_fma_f32 v250, v32, v30, -v39
	v_mul_f32_e32 v32, v35, v31
	v_fmac_f32_e32 v253, v33, v30
	v_fmac_f32_e32 v119, v35, v30
	v_fma_f32 v120, v34, v30, -v32
	s_clause 0x3
	global_load_dwordx4 v[32:35], v[37:38], off offset:304
	global_load_dwordx4 v[40:43], v[37:38], off offset:320
	;; [unrolled: 1-line block ×4, first 2 shown]
	ds_read2_b64 v[44:47], v174 offset0:150 offset1:201
	s_waitcnt vmcnt(3) lgkmcnt(0)
	v_mul_f32_e32 v39, v45, v35
	v_mul_f32_e32 v204, v44, v35
	v_mul_f32_e32 v123, v46, v35
	v_fma_f32 v203, v44, v34, -v39
	v_mul_f32_e32 v39, v47, v35
	v_fmac_f32_e32 v204, v45, v34
	v_fmac_f32_e32 v123, v47, v34
	v_fma_f32 v125, v46, v34, -v39
	ds_read2_b64 v[44:47], v177 offset0:200 offset1:251
	s_waitcnt vmcnt(2) lgkmcnt(0)
	v_mul_f32_e32 v39, v45, v43
	v_mul_f32_e32 v206, v44, v43
	v_mul_f32_e32 v126, v46, v43
	v_fma_f32 v205, v44, v42, -v39
	v_mul_f32_e32 v39, v47, v43
	v_fmac_f32_e32 v206, v45, v42
	v_fmac_f32_e32 v126, v47, v42
	v_fma_f32 v127, v46, v42, -v39
	;; [unrolled: 10-line block ×3, first 2 shown]
	ds_read2_b64 v[44:47], v249 offset0:204 offset1:255
	s_waitcnt lgkmcnt(0)
	v_mul_f32_e32 v60, v45, v17
	v_mul_f32_e32 v89, v44, v17
	s_waitcnt vmcnt(0)
	v_mul_f32_e32 v95, v46, v1
	v_fma_f32 v88, v44, v16, -v60
	v_mul_f32_e32 v44, v47, v1
	v_fmac_f32_e32 v89, v45, v16
	v_fmac_f32_e32 v95, v47, v0
	v_fma_f32 v96, v46, v0, -v44
	ds_read2_b64 v[44:47], v179 offset0:152 offset1:203
	v_add_f32_e32 v162, v89, v133
	s_waitcnt lgkmcnt(0)
	v_mul_f32_e32 v60, v47, v29
	v_mul_f32_e32 v214, v46, v29
	;; [unrolled: 1-line block ×3, first 2 shown]
	v_fma_f32 v213, v46, v28, -v60
	v_mul_f32_e32 v46, v45, v3
	v_fmac_f32_e32 v214, v47, v28
	v_fma_f32 v98, v44, v2, -v46
	buffer_store_dword v0, off, s[20:23], 0 offset:276 ; 4-byte Folded Spill
	buffer_store_dword v1, off, s[20:23], 0 offset:280 ; 4-byte Folded Spill
	;; [unrolled: 1-line block ×4, first 2 shown]
	v_sub_f32_e32 v255, v214, v206
	v_lshlrev_b32_e32 v0, 3, v94
	v_add_nc_u32_e32 v94, 0x2000, v0
	v_fmac_f32_e32 v97, v45, v2
	ds_read2_b64 v[44:47], v178 offset0:126 offset1:177
	s_waitcnt lgkmcnt(0)
	v_mul_f32_e32 v60, v45, v29
	v_mul_f32_e32 v128, v44, v29
	v_fma_f32 v129, v44, v28, -v60
	s_clause 0x1
	global_load_dwordx4 v[60:63], v[84:85], off offset:288
	global_load_dwordx4 v[76:79], v[84:85], off offset:304
	v_fmac_f32_e32 v128, v45, v28
	s_waitcnt vmcnt(1)
	v_mul_f32_e32 v44, v47, v61
	v_mul_f32_e32 v104, v46, v61
	v_fma_f32 v106, v46, v60, -v44
	v_fmac_f32_e32 v104, v47, v60
	ds_read2_b64 v[44:47], v180 offset0:202 offset1:253
	s_waitcnt lgkmcnt(0)
	v_mul_f32_e32 v80, v47, v33
	v_mul_f32_e32 v216, v46, v33
	;; [unrolled: 1-line block ×3, first 2 shown]
	v_fma_f32 v215, v46, v32, -v80
	v_mul_f32_e32 v46, v45, v63
	v_fmac_f32_e32 v216, v47, v32
	v_fmac_f32_e32 v102, v45, v62
	v_fma_f32 v105, v44, v62, -v46
	ds_read2_b64 v[44:47], v174 offset0:48 offset1:99
	s_waitcnt lgkmcnt(0)
	v_mul_f32_e32 v80, v45, v33
	v_mul_f32_e32 v130, v44, v33
	s_waitcnt vmcnt(0)
	v_mul_f32_e32 v99, v46, v77
	v_fma_f32 v131, v44, v32, -v80
	v_mul_f32_e32 v44, v47, v77
	v_fmac_f32_e32 v130, v45, v32
	v_fmac_f32_e32 v99, v47, v76
	v_fma_f32 v103, v46, v76, -v44
	ds_read2_b64 v[44:47], v175 offset0:124 offset1:175
	s_waitcnt lgkmcnt(0)
	v_mul_f32_e32 v80, v47, v41
	v_mul_f32_e32 v218, v46, v41
	;; [unrolled: 1-line block ×3, first 2 shown]
	v_fma_f32 v217, v46, v40, -v80
	v_mul_f32_e32 v46, v45, v79
	v_fmac_f32_e32 v218, v47, v40
	v_fmac_f32_e32 v107, v45, v78
	v_fma_f32 v110, v44, v78, -v46
	ds_read2_b64 v[44:47], v177 offset0:98 offset1:149
	v_sub_f32_e32 v252, v253, v218
	s_waitcnt lgkmcnt(0)
	v_mul_f32_e32 v80, v45, v41
	v_mul_f32_e32 v134, v44, v41
	v_fma_f32 v135, v44, v40, -v80
	s_clause 0x1
	global_load_dwordx4 v[80:83], v[84:85], off offset:320
	global_load_dwordx4 v[84:87], v[84:85], off offset:336
	v_fmac_f32_e32 v134, v45, v40
	ds_read2_b64 v[166:169], v249 offset1:51
	s_waitcnt vmcnt(1)
	v_mul_f32_e32 v44, v47, v81
	v_mul_f32_e32 v111, v46, v81
	v_fma_f32 v112, v46, v80, -v44
	v_fmac_f32_e32 v111, v47, v80
	ds_read2_b64 v[44:47], v188 offset0:46 offset1:97
	s_waitcnt lgkmcnt(0)
	v_mul_f32_e32 v113, v47, v65
	v_mul_f32_e32 v220, v46, v65
	v_fma_f32 v219, v46, v64, -v113
	v_mul_f32_e32 v46, v45, v83
	v_mul_f32_e32 v113, v44, v83
	v_fmac_f32_e32 v220, v47, v64
	v_sub_f32_e32 v254, v90, v219
	v_fma_f32 v114, v44, v82, -v46
	v_fmac_f32_e32 v113, v45, v82
	ds_read2_b64 v[44:47], v188 offset0:148 offset1:199
	v_sub_f32_e32 v248, v91, v220
	s_waitcnt lgkmcnt(0)
	v_mul_f32_e32 v115, v45, v65
	v_mul_f32_e32 v136, v44, v65
	v_fma_f32 v137, v44, v64, -v115
	s_waitcnt vmcnt(0)
	v_mul_f32_e32 v44, v47, v85
	v_mul_f32_e32 v115, v46, v85
	v_fmac_f32_e32 v136, v45, v64
	v_fma_f32 v118, v46, v84, -v44
	v_fmac_f32_e32 v115, v47, v84
	ds_read2_b64 v[44:47], v249 offset0:102 offset1:153
	s_waitcnt lgkmcnt(0)
	v_mul_f32_e32 v138, v46, v17
	v_fmac_f32_e32 v138, v47, v16
	v_mul_f32_e32 v47, v47, v17
	v_add_f32_e32 v153, v138, v212
	v_fma_f32 v46, v46, v16, -v47
	v_sub_f32_e32 v47, v138, v212
	v_add_f32_e32 v227, v167, v138
	v_add_f32_e32 v143, v46, v211
	v_mul_f32_e32 v142, 0xbf0a6770, v47
	v_mul_f32_e32 v141, 0xbf68dda4, v47
	;; [unrolled: 1-line block ×5, first 2 shown]
	v_fma_f32 v144, 0x3f575c64, v143, -v142
	v_fmac_f32_e32 v142, 0x3f575c64, v143
	v_fma_f32 v145, 0x3ed4b147, v143, -v141
	v_fmac_f32_e32 v141, 0x3ed4b147, v143
	;; [unrolled: 2-line block ×5, first 2 shown]
	v_sub_f32_e32 v143, v46, v211
	v_add_f32_e32 v46, v166, v46
	v_add_f32_e32 v210, v166, v145
	;; [unrolled: 1-line block ×4, first 2 shown]
	v_mul_f32_e32 v149, 0xbf0a6770, v143
	v_mul_f32_e32 v150, 0xbf68dda4, v143
	v_mul_f32_e32 v151, 0xbf7d64f0, v143
	v_mul_f32_e32 v152, 0xbf4178ce, v143
	v_mul_f32_e32 v143, 0xbe903f40, v143
	v_fmamk_f32 v154, v153, 0x3f575c64, v149
	v_fma_f32 v149, 0x3f575c64, v153, -v149
	v_fmamk_f32 v155, v153, 0x3ed4b147, v150
	v_fma_f32 v150, 0x3ed4b147, v153, -v150
	v_fmamk_f32 v156, v153, 0xbe11bafb, v151
	v_fma_f32 v151, 0xbe11bafb, v153, -v151
	v_fmamk_f32 v157, v153, 0xbf27a4f4, v152
	v_fma_f32 v152, 0xbf27a4f4, v153, -v152
	v_fmamk_f32 v170, v153, 0xbf75a155, v143
	v_fma_f32 v143, 0xbf75a155, v153, -v143
	v_sub_f32_e32 v153, v89, v133
	v_add_f32_e32 v207, v167, v155
	v_add_f32_e32 v164, v167, v150
	;; [unrolled: 1-line block ×4, first 2 shown]
	v_mul_f32_e32 v171, 0xbf0a6770, v153
	v_mul_f32_e32 v172, 0xbf68dda4, v153
	v_mul_f32_e32 v173, 0xbf7d64f0, v153
	v_mul_f32_e32 v181, 0xbf4178ce, v153
	v_mul_f32_e32 v182, 0xbe903f40, v153
	v_add_f32_e32 v153, v88, v132
	v_add_f32_e32 v247, v166, v147
	;; [unrolled: 1-line block ×5, first 2 shown]
	v_fma_f32 v183, 0x3f575c64, v153, -v171
	v_fmac_f32_e32 v171, 0x3f575c64, v153
	v_fma_f32 v184, 0x3ed4b147, v153, -v172
	v_fmac_f32_e32 v172, 0x3ed4b147, v153
	;; [unrolled: 2-line block ×5, first 2 shown]
	v_sub_f32_e32 v153, v88, v132
	v_add_f32_e32 v195, v166, v148
	v_add_f32_e32 v194, v167, v170
	;; [unrolled: 1-line block ×4, first 2 shown]
	v_mul_f32_e32 v158, 0xbf0a6770, v153
	v_mul_f32_e32 v159, 0xbf68dda4, v153
	;; [unrolled: 1-line block ×5, first 2 shown]
	v_fmamk_f32 v189, v162, 0x3f575c64, v158
	v_fma_f32 v198, 0x3f575c64, v162, -v158
	v_fmamk_f32 v200, v162, 0x3ed4b147, v159
	v_fma_f32 v202, 0x3ed4b147, v162, -v159
	;; [unrolled: 2-line block ×5, first 2 shown]
	v_add_f32_e32 v158, v168, v88
	v_add_f32_e32 v159, v169, v89
	v_add_f32_e32 v88, v166, v144
	v_add_f32_e32 v89, v167, v154
	v_add_f32_e32 v160, v166, v142
	v_add_f32_e32 v161, v167, v149
	v_add_f32_e32 v162, v167, v151
	v_add_f32_e32 v167, v90, v219
	v_mul_f32_e32 v166, 0xbf68dda4, v248
	v_add_f32_e32 v157, v168, v183
	v_add_f32_e32 v156, v169, v189
	;; [unrolled: 1-line block ×20, first 2 shown]
	v_fma_f32 v47, 0x3ed4b147, v167, -v166
	v_add_f32_e32 v168, v91, v220
	v_mul_f32_e32 v169, 0xbf68dda4, v254
	v_add_f32_e32 v171, v213, v205
	v_mul_f32_e32 v170, 0xbf7d64f0, v255
	v_add_f32_e32 v47, v47, v88
	v_sub_f32_e32 v222, v213, v205
	v_fmamk_f32 v88, v168, 0x3ed4b147, v169
	v_add_f32_e32 v173, v214, v206
	v_add_f32_e32 v181, v250, v217
	v_mul_f32_e32 v172, 0xbf4178ce, v252
	v_mul_f32_e32 v182, 0xbf7d64f0, v222
	v_add_f32_e32 v88, v88, v89
	v_fma_f32 v89, 0xbe11bafb, v171, -v170
	v_sub_f32_e32 v198, v250, v217
	v_add_f32_e32 v183, v253, v218
	v_sub_f32_e32 v200, v216, v204
	v_add_f32_e32 v186, v215, v203
	v_add_f32_e32 v47, v89, v47
	v_fmamk_f32 v89, v173, 0xbe11bafb, v182
	v_mul_f32_e32 v184, 0xbf4178ce, v198
	v_mul_f32_e32 v185, 0xbe903f40, v200
	v_sub_f32_e32 v202, v215, v203
	v_add_f32_e32 v187, v216, v204
	v_add_f32_e32 v88, v89, v88
	v_fma_f32 v89, 0xbf27a4f4, v181, -v172
	v_add_f32_e32 v46, v46, v90
	v_mul_f32_e32 v189, 0xbe903f40, v202
	v_mul_f32_e32 v221, 0xbf0a6770, v222
	;; [unrolled: 1-line block ×3, first 2 shown]
	v_add_f32_e32 v47, v89, v47
	v_fmamk_f32 v89, v183, 0xbf27a4f4, v184
	v_add_f32_e32 v46, v46, v213
	v_mul_f32_e32 v213, 0x3e903f40, v248
	v_mul_f32_e32 v224, 0xbe903f40, v198
	;; [unrolled: 1-line block ×3, first 2 shown]
	v_add_f32_e32 v89, v89, v88
	v_fma_f32 v88, 0xbf75a155, v186, -v185
	v_add_f32_e32 v46, v46, v250
	v_mul_f32_e32 v226, 0x3f68dda4, v202
	v_fmac_f32_e32 v166, 0x3ed4b147, v167
	v_fmac_f32_e32 v170, 0xbe11bafb, v171
	v_add_f32_e32 v88, v88, v47
	v_fmamk_f32 v47, v187, 0xbf75a155, v189
	v_add_f32_e32 v46, v46, v215
	v_fmac_f32_e32 v172, 0xbf27a4f4, v181
	v_fmac_f32_e32 v185, 0xbf75a155, v186
	v_add_f32_e32 v89, v47, v89
	v_add_f32_e32 v47, v227, v91
	;; [unrolled: 1-line block ×3, first 2 shown]
	v_mul_f32_e32 v203, 0xbf4178ce, v248
	v_mul_f32_e32 v227, 0x3f0a6770, v248
	v_add_f32_e32 v47, v47, v214
	v_add_f32_e32 v46, v46, v217
	;; [unrolled: 1-line block ×4, first 2 shown]
	v_mul_f32_e32 v205, 0x3e903f40, v255
	v_add_f32_e32 v47, v47, v216
	v_add_f32_e32 v46, v46, v219
	;; [unrolled: 1-line block ×4, first 2 shown]
	v_mul_f32_e32 v204, 0xbf4178ce, v254
	v_mul_f32_e32 v211, 0x3f0a6770, v200
	v_add_f32_e32 v47, v47, v218
	v_add_f32_e32 v47, v47, v206
	v_mul_f32_e32 v206, 0x3e903f40, v222
	v_add_f32_e32 v47, v47, v220
	v_mul_f32_e32 v220, 0x3f7d64f0, v254
	v_add_f32_e32 v91, v47, v212
	ds_read_b64 v[46:47], v249 offset:13056
	s_waitcnt lgkmcnt(0)
	s_waitcnt_vscnt null, 0x0
	s_barrier
	buffer_gl0_inv
	ds_write2_b64 v249, v[90:91], v[88:89] offset1:51
	v_fma_f32 v88, 0xbf27a4f4, v167, -v203
	v_fmamk_f32 v89, v168, 0xbf27a4f4, v204
	v_fma_f32 v90, 0xbf75a155, v171, -v205
	v_mul_f32_e32 v212, 0x3f0a6770, v202
	v_fmac_f32_e32 v203, 0xbf27a4f4, v167
	v_add_f32_e32 v88, v88, v210
	v_add_f32_e32 v89, v89, v207
	v_mul_f32_e32 v207, 0x3f7d64f0, v252
	v_mul_f32_e32 v210, 0x3f7d64f0, v198
	v_fmac_f32_e32 v205, 0xbf75a155, v171
	v_add_f32_e32 v88, v90, v88
	v_fmamk_f32 v90, v173, 0xbf75a155, v206
	buffer_store_dword v0, off, s[20:23], 0 offset:260 ; 4-byte Folded Spill
	v_add_f32_e32 v89, v90, v89
	v_fma_f32 v90, 0xbe11bafb, v181, -v207
	v_fmac_f32_e32 v207, 0xbe11bafb, v181
	v_add_f32_e32 v88, v90, v88
	v_fmamk_f32 v90, v183, 0xbe11bafb, v210
	v_add_f32_e32 v89, v90, v89
	v_fma_f32 v90, 0x3f575c64, v186, -v211
	v_fmac_f32_e32 v211, 0x3f575c64, v186
	v_add_f32_e32 v88, v90, v88
	v_fmamk_f32 v90, v187, 0x3f575c64, v212
	v_add_f32_e32 v89, v90, v89
	v_fma_f32 v90, 0xbf75a155, v167, -v213
	v_fmac_f32_e32 v213, 0xbf75a155, v167
	v_add_f32_e32 v90, v90, v201
	v_mul_f32_e32 v201, 0x3e903f40, v254
	v_fmamk_f32 v91, v168, 0xbf75a155, v201
	v_add_f32_e32 v91, v91, v199
	v_mul_f32_e32 v199, 0x3f68dda4, v255
	v_fma_f32 v214, 0x3ed4b147, v171, -v199
	v_fmac_f32_e32 v199, 0x3ed4b147, v171
	v_add_f32_e32 v90, v214, v90
	v_mul_f32_e32 v214, 0x3f68dda4, v222
	v_mul_f32_e32 v222, 0xbf4178ce, v222
	v_fmamk_f32 v215, v173, 0x3ed4b147, v214
	v_add_f32_e32 v91, v215, v91
	v_mul_f32_e32 v215, 0xbf0a6770, v252
	v_fma_f32 v216, 0x3f575c64, v181, -v215
	v_fmac_f32_e32 v215, 0x3f575c64, v181
	v_add_f32_e32 v90, v216, v90
	v_mul_f32_e32 v216, 0xbf0a6770, v198
	v_mul_f32_e32 v198, 0x3f68dda4, v198
	v_fmamk_f32 v217, v183, 0x3f575c64, v216
	v_add_f32_e32 v91, v217, v91
	v_mul_f32_e32 v217, 0xbf4178ce, v200
	v_mul_f32_e32 v200, 0xbf7d64f0, v200
	v_fma_f32 v218, 0xbf27a4f4, v186, -v217
	v_fmac_f32_e32 v217, 0xbf27a4f4, v186
	v_add_f32_e32 v90, v218, v90
	v_mul_f32_e32 v218, 0xbf4178ce, v202
	v_mul_f32_e32 v202, 0xbf7d64f0, v202
	v_fmamk_f32 v219, v187, 0xbf27a4f4, v218
	v_add_f32_e32 v91, v219, v91
	v_mul_f32_e32 v219, 0x3f7d64f0, v248
	ds_write2_b64 v249, v[88:89], v[90:91] offset0:102 offset1:153
	v_fmamk_f32 v89, v168, 0xbe11bafb, v220
	v_fma_f32 v88, 0xbe11bafb, v167, -v219
	v_fmac_f32_e32 v219, 0xbe11bafb, v167
	v_add_f32_e32 v89, v89, v197
	v_mul_f32_e32 v197, 0xbf0a6770, v255
	v_add_f32_e32 v88, v88, v247
	v_fma_f32 v90, 0x3f575c64, v171, -v197
	v_fmac_f32_e32 v197, 0x3f575c64, v171
	v_add_f32_e32 v88, v90, v88
	v_fmamk_f32 v90, v173, 0x3f575c64, v221
	v_add_f32_e32 v89, v90, v89
	v_fma_f32 v90, 0xbf75a155, v181, -v223
	v_fmac_f32_e32 v223, 0xbf75a155, v181
	v_add_f32_e32 v88, v90, v88
	v_fmamk_f32 v90, v183, 0xbf75a155, v224
	;; [unrolled: 5-line block ×3, first 2 shown]
	v_add_f32_e32 v89, v90, v89
	v_fma_f32 v90, 0x3f575c64, v167, -v227
	v_fmac_f32_e32 v227, 0x3f575c64, v167
	v_add_f32_e32 v90, v90, v195
	v_mul_f32_e32 v195, 0x3f0a6770, v254
	v_fmamk_f32 v91, v168, 0x3f575c64, v195
	v_add_f32_e32 v91, v91, v194
	v_mul_f32_e32 v194, 0xbf4178ce, v255
	v_fma_f32 v228, 0xbf27a4f4, v171, -v194
	v_fmac_f32_e32 v194, 0xbf27a4f4, v171
	v_add_f32_e32 v90, v228, v90
	v_fmamk_f32 v228, v173, 0xbf27a4f4, v222
	v_add_f32_e32 v91, v228, v91
	v_mul_f32_e32 v228, 0x3f68dda4, v252
	v_fma_f32 v229, 0x3ed4b147, v181, -v228
	v_fmac_f32_e32 v228, 0x3ed4b147, v181
	v_add_f32_e32 v90, v229, v90
	v_fmamk_f32 v229, v183, 0x3ed4b147, v198
	v_add_f32_e32 v91, v229, v91
	v_fma_f32 v229, 0xbe11bafb, v186, -v200
	v_fmac_f32_e32 v200, 0xbe11bafb, v186
	v_add_f32_e32 v90, v229, v90
	v_fmamk_f32 v229, v187, 0xbe11bafb, v202
	v_add_f32_e32 v91, v229, v91
	ds_write2_b64 v249, v[88:89], v[90:91] offset0:204 offset1:255
	v_fma_f32 v89, 0xbe11bafb, v168, -v220
	v_fma_f32 v90, 0x3f575c64, v173, -v221
	;; [unrolled: 1-line block ×3, first 2 shown]
	v_add_f32_e32 v88, v219, v193
	v_add_f32_e32 v89, v89, v192
	;; [unrolled: 1-line block ×3, first 2 shown]
	v_fma_f32 v190, 0xbf27a4f4, v173, -v222
	v_add_f32_e32 v88, v197, v88
	v_add_f32_e32 v89, v90, v89
	v_fma_f32 v90, 0xbf75a155, v183, -v224
	v_add_f32_e32 v91, v190, v91
	v_fma_f32 v190, 0x3ed4b147, v183, -v198
	v_add_f32_e32 v88, v223, v88
	v_add_f32_e32 v89, v90, v89
	v_fma_f32 v90, 0x3ed4b147, v187, -v226
	v_add_f32_e32 v91, v190, v91
	v_fma_f32 v190, 0xbe11bafb, v187, -v202
	v_add_f32_e32 v88, v225, v88
	v_add_f32_e32 v89, v90, v89
	;; [unrolled: 1-line block ×7, first 2 shown]
	ds_write2_b64 v179, v[90:91], v[88:89] offset0:50 offset1:101
	v_fma_f32 v89, 0xbf27a4f4, v168, -v204
	v_fma_f32 v90, 0xbf75a155, v173, -v206
	;; [unrolled: 1-line block ×3, first 2 shown]
	v_add_f32_e32 v88, v203, v165
	v_add_f32_e32 v89, v89, v164
	;; [unrolled: 1-line block ×3, first 2 shown]
	v_fma_f32 v162, 0x3ed4b147, v173, -v214
	v_add_f32_e32 v88, v205, v88
	v_add_f32_e32 v89, v90, v89
	v_fma_f32 v90, 0xbe11bafb, v183, -v210
	v_add_f32_e32 v91, v162, v91
	v_fma_f32 v162, 0x3f575c64, v183, -v216
	v_add_f32_e32 v88, v207, v88
	v_add_f32_e32 v89, v90, v89
	v_fma_f32 v90, 0x3f575c64, v187, -v212
	v_add_f32_e32 v91, v162, v91
	v_fma_f32 v162, 0xbf27a4f4, v187, -v218
	v_add_f32_e32 v88, v211, v88
	v_add_f32_e32 v89, v90, v89
	;; [unrolled: 1-line block ×7, first 2 shown]
	ds_write2_b64 v179, v[90:91], v[88:89] offset0:152 offset1:203
	v_fma_f32 v88, 0x3ed4b147, v168, -v169
	v_add_f32_e32 v90, v166, v160
	v_fma_f32 v89, 0xbe11bafb, v173, -v182
	v_fma_f32 v91, 0xbf75a155, v187, -v189
	v_add_f32_e32 v160, v131, v125
	v_add_f32_e32 v88, v88, v161
	;; [unrolled: 1-line block ×4, first 2 shown]
	v_fma_f32 v89, 0xbf27a4f4, v183, -v184
	v_add_f32_e32 v90, v172, v90
	v_add_f32_e32 v89, v89, v88
	;; [unrolled: 1-line block ×10, first 2 shown]
	v_sub_f32_e32 v120, v120, v135
	v_add_f32_e32 v91, v91, v119
	v_add_f32_e32 v90, v90, v131
	v_mul_f32_e32 v159, 0xbf4178ce, v120
	v_mul_f32_e32 v171, 0xbf0a6770, v120
	v_add_f32_e32 v91, v91, v130
	v_add_f32_e32 v90, v90, v125
	v_sub_f32_e32 v125, v131, v125
	v_sub_f32_e32 v131, v130, v123
	v_add_f32_e32 v91, v91, v123
	v_add_f32_e32 v90, v90, v135
	v_sub_f32_e32 v135, v119, v134
	v_add_f32_e32 v119, v119, v134
	v_add_f32_e32 v123, v130, v123
	v_add_f32_e32 v91, v91, v134
	v_add_f32_e32 v90, v90, v127
	v_mul_f32_e32 v134, 0xbf4178ce, v135
	v_mul_f32_e32 v130, 0xbe903f40, v131
	;; [unrolled: 1-line block ×3, first 2 shown]
	v_add_f32_e32 v91, v91, v126
	v_add_f32_e32 v90, v90, v137
	v_mul_f32_e32 v170, 0xbf0a6770, v135
	v_mul_f32_e32 v172, 0xbf4178ce, v131
	;; [unrolled: 1-line block ×3, first 2 shown]
	v_add_f32_e32 v91, v91, v136
	v_add_f32_e32 v90, v90, v132
	;; [unrolled: 1-line block ×3, first 2 shown]
	v_sub_f32_e32 v122, v122, v137
	v_add_f32_e32 v91, v91, v133
	v_sub_f32_e32 v133, v121, v136
	v_add_f32_e32 v121, v121, v136
	v_mul_f32_e32 v137, 0xbf68dda4, v122
	ds_write2_b64 v178, v[88:89], v[90:91] offset0:126 offset1:177
	v_mul_f32_e32 v136, 0xbf68dda4, v133
	v_mul_f32_e32 v162, 0xbf4178ce, v133
	v_fmamk_f32 v89, v121, 0x3ed4b147, v137
	v_mul_f32_e32 v181, 0x3f7d64f0, v133
	v_fma_f32 v88, 0x3ed4b147, v132, -v136
	v_fmac_f32_e32 v136, 0x3ed4b147, v132
	v_add_f32_e32 v89, v89, v156
	v_sub_f32_e32 v156, v129, v127
	v_add_f32_e32 v127, v129, v127
	v_sub_f32_e32 v129, v128, v126
	v_add_f32_e32 v126, v128, v126
	v_add_f32_e32 v88, v88, v157
	v_mul_f32_e32 v157, 0xbf7d64f0, v156
	v_mul_f32_e32 v169, 0x3f68dda4, v156
	;; [unrolled: 1-line block ×3, first 2 shown]
	v_fma_f32 v90, 0xbe11bafb, v127, -v128
	v_fmac_f32_e32 v128, 0xbe11bafb, v127
	v_add_f32_e32 v88, v90, v88
	v_fmamk_f32 v90, v126, 0xbe11bafb, v157
	v_add_f32_e32 v89, v90, v89
	v_fma_f32 v90, 0xbf27a4f4, v158, -v134
	v_fmac_f32_e32 v134, 0xbf27a4f4, v158
	v_add_f32_e32 v88, v90, v88
	v_fmamk_f32 v90, v119, 0xbf27a4f4, v159
	v_add_f32_e32 v89, v90, v89
	v_fma_f32 v90, 0xbf75a155, v160, -v130
	v_fmac_f32_e32 v130, 0xbf75a155, v160
	v_add_f32_e32 v88, v90, v88
	v_fmamk_f32 v90, v123, 0xbf75a155, v161
	v_add_f32_e32 v89, v90, v89
	v_fma_f32 v90, 0xbf27a4f4, v132, -v162
	v_fmac_f32_e32 v162, 0xbf27a4f4, v132
	v_add_f32_e32 v90, v90, v155
	v_mul_f32_e32 v155, 0xbf4178ce, v122
	v_fmamk_f32 v91, v121, 0xbf27a4f4, v155
	v_add_f32_e32 v91, v91, v154
	v_mul_f32_e32 v154, 0x3e903f40, v129
	v_fma_f32 v163, 0xbf75a155, v127, -v154
	v_fmac_f32_e32 v154, 0xbf75a155, v127
	v_add_f32_e32 v90, v163, v90
	v_mul_f32_e32 v163, 0x3e903f40, v156
	v_fmamk_f32 v164, v126, 0xbf75a155, v163
	v_add_f32_e32 v91, v164, v91
	v_mul_f32_e32 v164, 0x3f7d64f0, v135
	;; [unrolled: 7-line block ×4, first 2 shown]
	ds_write2_b64 v180, v[88:89], v[90:91] offset0:100 offset1:151
	v_fma_f32 v88, 0xbf75a155, v132, -v168
	v_fmac_f32_e32 v168, 0xbf75a155, v132
	v_add_f32_e32 v88, v88, v153
	v_mul_f32_e32 v153, 0x3e903f40, v122
	v_fmamk_f32 v89, v121, 0xbf75a155, v153
	v_add_f32_e32 v89, v89, v152
	v_mul_f32_e32 v152, 0x3f68dda4, v129
	v_fma_f32 v90, 0x3ed4b147, v127, -v152
	v_fmac_f32_e32 v152, 0x3ed4b147, v127
	v_add_f32_e32 v88, v90, v88
	v_fmamk_f32 v90, v126, 0x3ed4b147, v169
	v_add_f32_e32 v89, v90, v89
	v_fma_f32 v90, 0x3f575c64, v158, -v170
	v_fmac_f32_e32 v170, 0x3f575c64, v158
	v_add_f32_e32 v88, v90, v88
	v_fmamk_f32 v90, v119, 0x3f575c64, v171
	v_add_f32_e32 v89, v90, v89
	;; [unrolled: 5-line block ×3, first 2 shown]
	v_fma_f32 v90, 0xbe11bafb, v132, -v181
	v_fmac_f32_e32 v181, 0xbe11bafb, v132
	v_add_f32_e32 v90, v90, v151
	v_mul_f32_e32 v151, 0x3f7d64f0, v122
	v_fmamk_f32 v91, v121, 0xbe11bafb, v151
	v_add_f32_e32 v91, v91, v150
	v_mul_f32_e32 v150, 0xbf0a6770, v129
	v_fma_f32 v182, 0x3f575c64, v127, -v150
	v_fmac_f32_e32 v150, 0x3f575c64, v127
	v_add_f32_e32 v90, v182, v90
	v_mul_f32_e32 v182, 0xbf0a6770, v156
	v_fmamk_f32 v183, v126, 0x3f575c64, v182
	v_add_f32_e32 v91, v183, v91
	v_mul_f32_e32 v183, 0xbe903f40, v135
	v_fma_f32 v184, 0xbf75a155, v158, -v183
	v_fmac_f32_e32 v183, 0xbf75a155, v158
	v_add_f32_e32 v90, v184, v90
	v_mul_f32_e32 v184, 0xbe903f40, v120
	v_mul_f32_e32 v120, 0x3f68dda4, v120
	v_fmamk_f32 v185, v119, 0xbf75a155, v184
	v_add_f32_e32 v91, v185, v91
	v_mul_f32_e32 v185, 0x3f68dda4, v131
	v_mul_f32_e32 v131, 0xbf7d64f0, v131
	v_fma_f32 v186, 0x3ed4b147, v160, -v185
	v_fmac_f32_e32 v185, 0x3ed4b147, v160
	v_add_f32_e32 v90, v186, v90
	v_mul_f32_e32 v186, 0x3f68dda4, v125
	v_mul_f32_e32 v125, 0xbf7d64f0, v125
	v_fmamk_f32 v187, v123, 0x3ed4b147, v186
	v_add_f32_e32 v91, v187, v91
	ds_write2_b64 v180, v[88:89], v[90:91] offset0:202 offset1:253
	v_mul_f32_e32 v90, 0x3f0a6770, v133
	v_mul_f32_e32 v91, 0x3f0a6770, v122
	;; [unrolled: 1-line block ×3, first 2 shown]
	v_fma_f32 v88, 0x3f575c64, v132, -v90
	v_fmamk_f32 v89, v121, 0x3f575c64, v91
	v_fma_f32 v129, 0xbf27a4f4, v127, -v122
	v_fmac_f32_e32 v90, 0x3f575c64, v132
	v_fma_f32 v91, 0x3f575c64, v121, -v91
	v_add_f32_e32 v88, v88, v149
	v_add_f32_e32 v89, v89, v148
	v_fmac_f32_e32 v122, 0xbf27a4f4, v127
	v_add_f32_e32 v90, v90, v147
	v_add_f32_e32 v91, v91, v146
	;; [unrolled: 1-line block ×3, first 2 shown]
	v_mul_f32_e32 v129, 0xbf4178ce, v156
	v_add_f32_e32 v90, v122, v90
	v_fmamk_f32 v133, v126, 0xbf27a4f4, v129
	v_fma_f32 v122, 0xbf27a4f4, v126, -v129
	v_add_f32_e32 v89, v133, v89
	v_mul_f32_e32 v133, 0x3f68dda4, v135
	v_add_f32_e32 v91, v122, v91
	v_fma_f32 v135, 0x3ed4b147, v158, -v133
	v_fmac_f32_e32 v133, 0x3ed4b147, v158
	v_add_f32_e32 v88, v135, v88
	v_fmamk_f32 v135, v119, 0x3ed4b147, v120
	v_fma_f32 v120, 0x3ed4b147, v119, -v120
	v_add_f32_e32 v90, v133, v90
	v_add_f32_e32 v89, v135, v89
	v_fma_f32 v135, 0xbe11bafb, v160, -v131
	v_add_f32_e32 v91, v120, v91
	v_fmac_f32_e32 v131, 0xbe11bafb, v160
	v_fma_f32 v120, 0xbe11bafb, v123, -v125
	v_add_f32_e32 v88, v135, v88
	v_fmamk_f32 v135, v123, 0xbe11bafb, v125
	v_add_f32_e32 v90, v131, v90
	v_add_f32_e32 v91, v120, v91
	v_fma_f32 v120, 0x3f575c64, v126, -v182
	v_add_f32_e32 v89, v135, v89
	ds_write2_b64 v174, v[88:89], v[90:91] offset0:48 offset1:99
	v_fma_f32 v89, 0xbf75a155, v121, -v153
	v_fma_f32 v90, 0x3ed4b147, v126, -v169
	;; [unrolled: 1-line block ×3, first 2 shown]
	v_add_f32_e32 v88, v168, v145
	v_add_f32_e32 v89, v89, v144
	;; [unrolled: 1-line block ×5, first 2 shown]
	v_fma_f32 v90, 0x3f575c64, v119, -v171
	v_add_f32_e32 v91, v120, v91
	v_fma_f32 v120, 0xbf75a155, v119, -v184
	v_add_f32_e32 v88, v170, v88
	v_add_f32_e32 v89, v90, v89
	v_fma_f32 v90, 0xbf27a4f4, v123, -v173
	v_add_f32_e32 v91, v120, v91
	v_fma_f32 v120, 0x3ed4b147, v123, -v186
	v_add_f32_e32 v88, v172, v88
	v_add_f32_e32 v89, v90, v89
	;; [unrolled: 1-line block ×4, first 2 shown]
	v_fma_f32 v120, 0xbf75a155, v126, -v163
	v_add_f32_e32 v90, v150, v90
	v_add_f32_e32 v90, v183, v90
	;; [unrolled: 1-line block ×3, first 2 shown]
	ds_write2_b64 v174, v[90:91], v[88:89] offset0:150 offset1:201
	v_fma_f32 v89, 0x3ed4b147, v121, -v137
	v_fma_f32 v90, 0xbe11bafb, v126, -v157
	v_add_f32_e32 v88, v136, v141
	v_add_f32_e32 v91, v162, v138
	v_add_f32_e32 v89, v89, v140
	v_add_f32_e32 v88, v128, v88
	v_add_f32_e32 v91, v154, v91
	v_add_f32_e32 v89, v90, v89
	v_fma_f32 v90, 0xbf27a4f4, v119, -v159
	v_fma_f32 v119, 0xbe11bafb, v119, -v165
	v_add_f32_e32 v88, v134, v88
	v_add_f32_e32 v91, v164, v91
	;; [unrolled: 1-line block ×3, first 2 shown]
	v_fma_f32 v90, 0xbf75a155, v123, -v161
	v_add_f32_e32 v88, v130, v88
	v_add_f32_e32 v89, v90, v89
	v_fma_f32 v90, 0xbf27a4f4, v121, -v155
	v_add_f32_e32 v90, v90, v139
	v_add_f32_e32 v90, v120, v90
	;; [unrolled: 3-line block ×3, first 2 shown]
	v_add_f32_e32 v91, v120, v119
	v_sub_f32_e32 v119, v98, v118
	ds_write2_b64 v175, v[90:91], v[88:89] offset0:124 offset1:175
	v_mul_f32_e32 v88, v47, v87
	v_mul_f32_e32 v89, v46, v87
	;; [unrolled: 1-line block ×5, first 2 shown]
	v_fma_f32 v88, v46, v86, -v88
	v_fmac_f32_e32 v89, v47, v86
	v_add_f32_e32 v46, v44, v96
	v_add_f32_e32 v47, v45, v95
	v_mul_f32_e32 v152, 0x3f7d64f0, v119
	v_add_f32_e32 v90, v96, v88
	v_sub_f32_e32 v91, v96, v88
	v_add_f32_e32 v46, v46, v98
	v_add_f32_e32 v47, v47, v97
	v_sub_f32_e32 v96, v95, v89
	v_add_f32_e32 v98, v98, v118
	v_add_f32_e32 v95, v95, v89
	;; [unrolled: 1-line block ×4, first 2 shown]
	v_mul_f32_e32 v121, 0xbf0a6770, v91
	v_mul_f32_e32 v132, 0xbf68dda4, v91
	;; [unrolled: 1-line block ×3, first 2 shown]
	v_add_f32_e32 v46, v46, v105
	v_add_f32_e32 v47, v47, v102
	v_mul_f32_e32 v142, 0xbf7d64f0, v91
	v_mul_f32_e32 v151, 0xbf4178ce, v91
	;; [unrolled: 1-line block ×3, first 2 shown]
	v_add_f32_e32 v46, v46, v103
	v_add_f32_e32 v47, v47, v99
	v_mul_f32_e32 v119, 0x3f0a6770, v119
	v_add_f32_e32 v46, v46, v110
	v_add_f32_e32 v47, v47, v107
	;; [unrolled: 1-line block ×8, first 2 shown]
	v_sub_f32_e32 v118, v97, v115
	v_add_f32_e32 v97, v97, v115
	v_mul_f32_e32 v115, 0xbf0a6770, v96
	v_add_f32_e32 v46, v46, v88
	v_add_f32_e32 v47, v47, v89
	v_mul_f32_e32 v120, 0xbf68dda4, v118
	v_fmamk_f32 v123, v97, 0x3ed4b147, v122
	v_fma_f32 v88, 0x3f575c64, v90, -v115
	v_mul_f32_e32 v131, 0xbf4178ce, v118
	v_mul_f32_e32 v141, 0x3e903f40, v118
	v_fma_f32 v89, 0x3ed4b147, v98, -v120
	v_fmamk_f32 v144, v97, 0xbf75a155, v143
	v_add_f32_e32 v88, v44, v88
	v_fmamk_f32 v159, v97, 0x3f575c64, v119
	v_fmac_f32_e32 v115, 0x3f575c64, v90
	v_fmac_f32_e32 v120, 0x3ed4b147, v98
	v_add_f32_e32 v88, v89, v88
	v_fmamk_f32 v89, v95, 0x3f575c64, v121
	v_add_f32_e32 v89, v45, v89
	v_add_f32_e32 v89, v123, v89
	v_add_f32_e32 v123, v106, v114
	v_sub_f32_e32 v106, v106, v114
	v_sub_f32_e32 v114, v104, v113
	v_add_f32_e32 v104, v104, v113
	v_mul_f32_e32 v135, 0x3e903f40, v106
	v_mul_f32_e32 v113, 0xbf7d64f0, v114
	;; [unrolled: 1-line block ×5, first 2 shown]
	v_fma_f32 v125, 0xbe11bafb, v123, -v113
	v_fmac_f32_e32 v113, 0xbe11bafb, v123
	v_add_f32_e32 v88, v125, v88
	v_mul_f32_e32 v125, 0xbf7d64f0, v106
	v_fmamk_f32 v126, v104, 0xbe11bafb, v125
	v_add_f32_e32 v89, v126, v89
	v_add_f32_e32 v126, v105, v112
	v_sub_f32_e32 v105, v105, v112
	v_sub_f32_e32 v112, v102, v111
	v_add_f32_e32 v102, v102, v111
	v_mul_f32_e32 v137, 0x3f7d64f0, v105
	v_mul_f32_e32 v111, 0xbf4178ce, v112
	;; [unrolled: 1-line block ×5, first 2 shown]
	v_fma_f32 v127, 0xbf27a4f4, v126, -v111
	v_fmac_f32_e32 v111, 0xbf27a4f4, v126
	v_add_f32_e32 v88, v127, v88
	v_mul_f32_e32 v127, 0xbf4178ce, v105
	v_fmamk_f32 v128, v102, 0xbf27a4f4, v127
	v_add_f32_e32 v89, v128, v89
	v_sub_f32_e32 v128, v103, v110
	v_add_f32_e32 v103, v103, v110
	v_sub_f32_e32 v110, v99, v107
	v_add_f32_e32 v99, v99, v107
	v_mul_f32_e32 v139, 0x3f0a6770, v128
	v_mul_f32_e32 v158, 0x3f68dda4, v128
	;; [unrolled: 1-line block ×5, first 2 shown]
	v_fma_f32 v129, 0xbf75a155, v103, -v107
	v_fmac_f32_e32 v107, 0xbf75a155, v103
	v_add_f32_e32 v88, v129, v88
	v_mul_f32_e32 v129, 0xbe903f40, v128
	v_fmamk_f32 v130, v99, 0xbf75a155, v129
	v_add_f32_e32 v89, v130, v89
	v_mul_f32_e32 v130, 0xbf68dda4, v96
	ds_write2_b64 v94, v[46:47], v[88:89] offset0:98 offset1:149
	v_fma_f32 v46, 0x3ed4b147, v90, -v130
	v_fma_f32 v47, 0xbf27a4f4, v98, -v131
	v_fmamk_f32 v88, v97, 0xbf27a4f4, v133
	v_fma_f32 v89, 0xbf75a155, v98, -v141
	v_fmac_f32_e32 v130, 0x3ed4b147, v90
	v_add_f32_e32 v46, v44, v46
	v_fmac_f32_e32 v131, 0xbf27a4f4, v98
	v_fmac_f32_e32 v141, 0xbf75a155, v98
	v_add_f32_e32 v46, v47, v46
	v_fmamk_f32 v47, v95, 0x3ed4b147, v132
	v_add_f32_e32 v47, v45, v47
	v_add_f32_e32 v47, v88, v47
	v_fma_f32 v88, 0xbf75a155, v123, -v134
	v_fmac_f32_e32 v134, 0xbf75a155, v123
	v_add_f32_e32 v46, v88, v46
	v_fmamk_f32 v88, v104, 0xbf75a155, v135
	v_add_f32_e32 v47, v88, v47
	v_fma_f32 v88, 0xbe11bafb, v126, -v136
	v_fmac_f32_e32 v136, 0xbe11bafb, v126
	v_add_f32_e32 v46, v88, v46
	v_fmamk_f32 v88, v102, 0xbe11bafb, v137
	;; [unrolled: 5-line block ×3, first 2 shown]
	v_add_f32_e32 v47, v88, v47
	v_fma_f32 v88, 0xbe11bafb, v90, -v140
	v_fmac_f32_e32 v140, 0xbe11bafb, v90
	v_add_f32_e32 v88, v44, v88
	v_add_f32_e32 v88, v89, v88
	v_fmamk_f32 v89, v95, 0xbe11bafb, v142
	v_add_f32_e32 v89, v45, v89
	v_add_f32_e32 v89, v144, v89
	v_mul_f32_e32 v144, 0x3f68dda4, v114
	v_mul_f32_e32 v114, 0xbf4178ce, v114
	v_fma_f32 v145, 0x3ed4b147, v123, -v144
	v_fmac_f32_e32 v144, 0x3ed4b147, v123
	v_add_f32_e32 v88, v145, v88
	v_mul_f32_e32 v145, 0x3f68dda4, v106
	v_mul_f32_e32 v106, 0xbf4178ce, v106
	v_fmamk_f32 v146, v104, 0x3ed4b147, v145
	v_add_f32_e32 v89, v146, v89
	v_mul_f32_e32 v146, 0xbf0a6770, v112
	v_mul_f32_e32 v112, 0x3f68dda4, v112
	v_fma_f32 v147, 0x3f575c64, v126, -v146
	v_fmac_f32_e32 v146, 0x3f575c64, v126
	v_add_f32_e32 v88, v147, v88
	v_mul_f32_e32 v147, 0xbf0a6770, v105
	v_mul_f32_e32 v105, 0x3f68dda4, v105
	v_fmamk_f32 v148, v102, 0x3f575c64, v147
	v_add_f32_e32 v89, v148, v89
	v_mul_f32_e32 v148, 0xbf4178ce, v110
	v_mul_f32_e32 v110, 0xbf7d64f0, v110
	v_fma_f32 v149, 0xbf27a4f4, v103, -v148
	v_fmac_f32_e32 v148, 0xbf27a4f4, v103
	v_add_f32_e32 v88, v149, v88
	v_mul_f32_e32 v149, 0xbf4178ce, v128
	v_mul_f32_e32 v128, 0xbf7d64f0, v128
	v_fmamk_f32 v150, v99, 0xbf27a4f4, v149
	v_add_f32_e32 v89, v150, v89
	v_mul_f32_e32 v150, 0x3f7d64f0, v118
	v_mul_f32_e32 v118, 0x3f0a6770, v118
	ds_write2_b64 v94, v[46:47], v[88:89] offset0:200 offset1:251
	v_mul_f32_e32 v94, 0xbf4178ce, v96
	v_fma_f32 v47, 0xbe11bafb, v98, -v150
	v_fmamk_f32 v88, v97, 0xbe11bafb, v152
	v_mul_f32_e32 v96, 0xbe903f40, v96
	v_fma_f32 v89, 0x3f575c64, v98, -v118
	v_fma_f32 v46, 0xbf27a4f4, v90, -v94
	v_fmac_f32_e32 v94, 0xbf27a4f4, v90
	v_fmac_f32_e32 v150, 0xbe11bafb, v98
	;; [unrolled: 1-line block ×3, first 2 shown]
	v_add_f32_e32 v46, v44, v46
	v_add_f32_e32 v46, v47, v46
	v_fmamk_f32 v47, v95, 0xbf27a4f4, v151
	v_add_f32_e32 v47, v45, v47
	v_add_f32_e32 v47, v88, v47
	v_fma_f32 v88, 0x3f575c64, v123, -v153
	v_fmac_f32_e32 v153, 0x3f575c64, v123
	v_add_f32_e32 v46, v88, v46
	v_fmamk_f32 v88, v104, 0x3f575c64, v154
	v_add_f32_e32 v47, v88, v47
	v_fma_f32 v88, 0xbf75a155, v126, -v155
	v_fmac_f32_e32 v155, 0xbf75a155, v126
	v_add_f32_e32 v46, v88, v46
	v_fmamk_f32 v88, v102, 0xbf75a155, v156
	;; [unrolled: 5-line block ×3, first 2 shown]
	v_add_f32_e32 v47, v88, v47
	v_fma_f32 v88, 0xbf75a155, v90, -v96
	v_fmac_f32_e32 v96, 0xbf75a155, v90
	v_add_f32_e32 v88, v44, v88
	v_add_f32_e32 v88, v89, v88
	v_fmamk_f32 v89, v95, 0xbf75a155, v91
	v_add_f32_e32 v89, v45, v89
	v_add_f32_e32 v89, v159, v89
	v_fma_f32 v159, 0xbf27a4f4, v123, -v114
	v_fmac_f32_e32 v114, 0xbf27a4f4, v123
	v_add_f32_e32 v88, v159, v88
	v_fmamk_f32 v159, v104, 0xbf27a4f4, v106
	v_add_f32_e32 v89, v159, v89
	v_fma_f32 v159, 0x3ed4b147, v126, -v112
	v_fmac_f32_e32 v112, 0x3ed4b147, v126
	v_add_f32_e32 v88, v159, v88
	v_fmamk_f32 v159, v102, 0x3ed4b147, v105
	;; [unrolled: 5-line block ×3, first 2 shown]
	v_add_f32_e32 v89, v159, v89
	v_add_nc_u32_e32 v159, 0x2800, v0
	ds_write2_b64 v159, v[46:47], v[88:89] offset0:46 offset1:97
	v_fma_f32 v47, 0xbf27a4f4, v95, -v151
	v_fma_f32 v88, 0xbe11bafb, v97, -v152
	;; [unrolled: 1-line block ×3, first 2 shown]
	v_add_f32_e32 v46, v44, v94
	v_fma_f32 v91, 0x3f575c64, v97, -v119
	v_add_f32_e32 v47, v45, v47
	v_add_f32_e32 v89, v45, v89
	;; [unrolled: 1-line block ×4, first 2 shown]
	v_fma_f32 v88, 0x3f575c64, v104, -v154
	v_add_f32_e32 v89, v91, v89
	v_fma_f32 v91, 0xbf27a4f4, v104, -v106
	v_add_f32_e32 v46, v153, v46
	v_add_f32_e32 v47, v88, v47
	v_fma_f32 v88, 0xbf75a155, v102, -v156
	v_add_f32_e32 v89, v91, v89
	v_fma_f32 v91, 0x3ed4b147, v102, -v105
	v_add_f32_e32 v46, v155, v46
	v_add_f32_e32 v47, v88, v47
	;; [unrolled: 5-line block ×3, first 2 shown]
	v_add_f32_e32 v88, v44, v96
	v_add_f32_e32 v89, v91, v89
	v_fma_f32 v91, 0xbf75a155, v97, -v143
	v_add_f32_e32 v88, v118, v88
	v_add_f32_e32 v88, v114, v88
	;; [unrolled: 1-line block ×4, first 2 shown]
	ds_write2_b64 v159, v[88:89], v[46:47] offset0:148 offset1:199
	v_fma_f32 v47, 0x3ed4b147, v95, -v132
	v_fma_f32 v88, 0xbf27a4f4, v97, -v133
	;; [unrolled: 1-line block ×3, first 2 shown]
	v_add_f32_e32 v46, v44, v130
	v_add_f32_e32 v47, v45, v47
	;; [unrolled: 1-line block ×5, first 2 shown]
	v_fma_f32 v88, 0xbf75a155, v104, -v135
	v_add_f32_e32 v89, v91, v89
	v_fma_f32 v91, 0x3ed4b147, v104, -v145
	v_add_f32_e32 v46, v134, v46
	v_add_f32_e32 v47, v88, v47
	v_fma_f32 v88, 0xbe11bafb, v102, -v137
	v_add_f32_e32 v89, v91, v89
	v_fma_f32 v91, 0x3f575c64, v102, -v147
	v_add_f32_e32 v46, v136, v46
	v_add_f32_e32 v47, v88, v47
	;; [unrolled: 5-line block ×3, first 2 shown]
	v_add_f32_e32 v88, v44, v140
	v_add_f32_e32 v89, v91, v89
	v_add_nc_u32_e32 v91, 0x2c00, v0
	v_add_f32_e32 v44, v44, v115
	v_add_f32_e32 v88, v141, v88
	;; [unrolled: 1-line block ×9, first 2 shown]
	ds_write2_b64 v91, v[88:89], v[46:47] offset0:122 offset1:173
	v_fma_f32 v46, 0x3f575c64, v95, -v121
	v_add_f32_e32 v45, v45, v46
	v_fma_f32 v46, 0x3ed4b147, v97, -v122
	v_add_f32_e32 v45, v46, v45
	;; [unrolled: 2-line block ×5, first 2 shown]
	v_lshlrev_b32_e32 v46, 4, v251
	ds_write_b64 v0, v[44:45] offset:13056
	v_lshlrev_b32_e32 v44, 4, v244
	s_waitcnt lgkmcnt(0)
	s_waitcnt_vscnt null, 0x0
	s_barrier
	buffer_gl0_inv
	v_add_co_u32 v44, s0, s2, v44
	v_add_co_ci_u32_e64 v45, null, s3, 0, s0
	v_add_co_u32 v44, s0, 0x1000, v44
	v_add_co_ci_u32_e64 v45, s0, 0, v45, s0
	v_add_co_u32 v46, s0, s2, v46
	v_add_co_ci_u32_e64 v47, null, s3, 0, s0
	v_add_co_u32 v88, s0, 0x1000, v46
	v_add_co_ci_u32_e64 v89, s0, 0, v47, s0
	s_clause 0x1
	global_load_dwordx4 v[0:3], v[44:45], off offset:256
	global_load_dwordx4 v[88:91], v[88:89], off offset:256
	ds_read2_b64 v[94:97], v177 offset0:98 offset1:149
	ds_read2_b64 v[102:105], v180 offset0:100 offset1:151
	v_add_co_u32 v93, s0, s2, v93
	s_waitcnt vmcnt(1) lgkmcnt(1)
	v_mul_f32_e32 v98, v95, v3
	v_mul_f32_e32 v133, v94, v3
	s_waitcnt vmcnt(0)
	v_mul_f32_e32 v135, v96, v91
	s_waitcnt lgkmcnt(0)
	v_mul_f32_e32 v181, v102, v89
	v_fma_f32 v132, v94, v2, -v98
	v_mul_f32_e32 v94, v97, v91
	v_fmac_f32_e32 v133, v95, v2
	v_fmac_f32_e32 v135, v97, v90
	;; [unrolled: 1-line block ×3, first 2 shown]
	v_fma_f32 v134, v96, v90, -v94
	v_add_co_ci_u32_e64 v94, null, s3, 0, s0
	v_add_co_u32 v93, s0, 0x1000, v93
	v_add_co_ci_u32_e64 v94, s0, 0, v94, s0
	v_add_co_u32 v92, s0, s2, v92
	v_add_co_ci_u32_e64 v95, null, s3, 0, s0
	v_add_co_u32 v96, s0, 0x1000, v92
	v_mul_f32_e32 v92, v103, v89
	v_add_co_ci_u32_e64 v97, s0, 0, v95, s0
	v_add_co_u32 v101, s0, s2, v101
	v_fma_f32 v182, v102, v88, -v92
	s_clause 0x1
	global_load_dwordx4 v[92:95], v[93:94], off offset:256
	global_load_dwordx4 v[96:99], v[96:97], off offset:256
	ds_read2_b64 v[110:113], v180 offset0:202 offset1:253
	s_waitcnt vmcnt(1)
	v_mul_f32_e32 v102, v105, v93
	v_mul_f32_e32 v140, v104, v93
	s_waitcnt vmcnt(0) lgkmcnt(0)
	v_mul_f32_e32 v185, v110, v97
	v_fma_f32 v139, v104, v92, -v102
	v_fmac_f32_e32 v140, v105, v92
	ds_read2_b64 v[102:105], v177 offset0:200 offset1:251
	v_fmac_f32_e32 v185, v111, v96
	s_waitcnt lgkmcnt(0)
	v_mul_f32_e32 v106, v103, v95
	v_mul_f32_e32 v137, v102, v95
	;; [unrolled: 1-line block ×3, first 2 shown]
	v_fma_f32 v136, v102, v94, -v106
	v_mul_f32_e32 v102, v105, v99
	v_fmac_f32_e32 v137, v103, v94
	v_fmac_f32_e32 v142, v105, v98
	v_sub_f32_e32 v192, v139, v136
	v_fma_f32 v141, v104, v98, -v102
	v_add_co_ci_u32_e64 v102, null, s3, 0, s0
	v_add_co_u32 v101, s0, 0x1000, v101
	v_add_co_ci_u32_e64 v102, s0, 0, v102, s0
	v_add_co_u32 v100, s0, s2, v100
	v_add_co_ci_u32_e64 v103, null, s3, 0, s0
	v_add_co_u32 v104, s0, 0x1000, v100
	v_mul_f32_e32 v100, v111, v97
	v_add_co_ci_u32_e64 v105, s0, 0, v103, s0
	v_add_co_u32 v108, s0, s2, v108
	v_fma_f32 v186, v110, v96, -v100
	s_clause 0x1
	global_load_dwordx4 v[100:103], v[101:102], off offset:256
	global_load_dwordx4 v[104:107], v[104:105], off offset:256
	ds_read2_b64 v[118:121], v174 offset0:48 offset1:99
	s_waitcnt vmcnt(1)
	v_mul_f32_e32 v110, v113, v101
	v_mul_f32_e32 v146, v112, v101
	s_waitcnt vmcnt(0) lgkmcnt(0)
	v_mul_f32_e32 v160, v118, v105
	v_fma_f32 v145, v112, v100, -v110
	v_fmac_f32_e32 v146, v113, v100
	ds_read2_b64 v[110:113], v188 offset0:46 offset1:97
	v_fmac_f32_e32 v160, v119, v104
	s_waitcnt lgkmcnt(0)
	v_mul_f32_e32 v114, v111, v103
	v_mul_f32_e32 v148, v110, v103
	;; [unrolled: 1-line block ×3, first 2 shown]
	v_fma_f32 v147, v110, v102, -v114
	v_mul_f32_e32 v110, v113, v107
	v_fmac_f32_e32 v148, v111, v102
	v_add_co_ci_u32_e64 v111, null, s3, 0, s0
	v_fmac_f32_e32 v144, v113, v106
	v_fma_f32 v143, v112, v106, -v110
	v_add_co_u32 v110, s0, 0x1000, v108
	v_lshlrev_b32_e32 v108, 4, v109
	v_add_co_ci_u32_e64 v111, s0, 0, v111, s0
	v_add_co_u32 v108, s0, s2, v108
	v_add_co_ci_u32_e64 v109, null, s3, 0, s0
	v_add_co_u32 v112, s0, 0x1000, v108
	v_mul_f32_e32 v108, v119, v105
	v_add_co_ci_u32_e64 v113, s0, 0, v109, s0
	v_add_co_u32 v116, s0, s2, v116
	v_fma_f32 v158, v118, v104, -v108
	s_clause 0x1
	global_load_dwordx4 v[108:111], v[110:111], off offset:256
	global_load_dwordx4 v[112:115], v[112:113], off offset:256
	ds_read2_b64 v[125:128], v174 offset0:150 offset1:201
	s_waitcnt vmcnt(1)
	v_mul_f32_e32 v118, v121, v109
	v_mul_f32_e32 v149, v120, v109
	s_waitcnt vmcnt(0) lgkmcnt(0)
	v_mul_f32_e32 v153, v125, v113
	v_fma_f32 v156, v120, v108, -v118
	v_fmac_f32_e32 v149, v121, v108
	ds_read2_b64 v[118:121], v188 offset0:148 offset1:199
	v_fmac_f32_e32 v153, v126, v112
	s_waitcnt lgkmcnt(0)
	v_mul_f32_e32 v122, v119, v111
	v_mul_f32_e32 v159, v118, v111
	;; [unrolled: 1-line block ×3, first 2 shown]
	v_fma_f32 v157, v118, v110, -v122
	v_mul_f32_e32 v118, v121, v115
	v_fmac_f32_e32 v159, v119, v110
	v_add_co_ci_u32_e64 v119, null, s3, 0, s0
	v_fmac_f32_e32 v150, v121, v114
	v_fma_f32 v138, v120, v114, -v118
	v_add_co_u32 v118, s0, 0x1000, v116
	v_lshlrev_b32_e32 v116, 4, v117
	v_add_co_ci_u32_e64 v119, s0, 0, v119, s0
	v_add_co_u32 v116, s0, s2, v116
	v_add_co_ci_u32_e64 v117, null, s3, 0, s0
	v_add_co_u32 v120, s0, 0x1000, v116
	v_mul_f32_e32 v116, v126, v113
	v_add_co_ci_u32_e64 v121, s0, 0, v117, s0
	v_add_co_u32 v124, s0, s2, v124
	v_fma_f32 v152, v125, v112, -v116
	s_clause 0x1
	global_load_dwordx4 v[116:119], v[118:119], off offset:256
	global_load_dwordx4 v[120:123], v[120:121], off offset:256
	s_add_u32 s2, s6, 0x3498
	s_waitcnt vmcnt(1)
	v_mul_f32_e32 v125, v128, v117
	v_mul_f32_e32 v164, v127, v117
	v_fma_f32 v154, v127, v116, -v125
	v_fmac_f32_e32 v164, v128, v116
	ds_read2_b64 v[125:128], v176 offset0:122 offset1:173
	s_waitcnt lgkmcnt(0)
	v_mul_f32_e32 v129, v126, v119
	v_mul_f32_e32 v167, v125, v119
	s_waitcnt vmcnt(0)
	v_mul_f32_e32 v155, v127, v123
	v_fma_f32 v163, v125, v118, -v129
	v_mul_f32_e32 v125, v128, v123
	v_fmac_f32_e32 v167, v126, v118
	v_fmac_f32_e32 v155, v128, v122
	v_fma_f32 v151, v127, v122, -v125
	ds_read2_b64 v[126:129], v175 offset0:124 offset1:175
	v_add_co_ci_u32_e64 v125, null, s3, 0, s0
	v_add_co_u32 v124, s0, 0x1000, v124
	s_addc_u32 s3, s7, 0
	v_add_co_ci_u32_e64 v125, s0, 0, v125, s0
	s_waitcnt lgkmcnt(0)
	v_mul_f32_e32 v130, v127, v121
	v_mul_f32_e32 v169, v126, v121
	v_fma_f32 v165, v126, v120, -v130
	v_fmac_f32_e32 v169, v127, v120
	global_load_dwordx4 v[124:127], v[124:125], off offset:256
	s_waitcnt vmcnt(0)
	v_mul_f32_e32 v130, v129, v125
	v_mul_f32_e32 v168, v128, v125
	v_fma_f32 v166, v128, v124, -v130
	v_fmac_f32_e32 v168, v129, v124
	ds_read2_b64 v[128:131], v178 offset0:126 offset1:177
	s_waitcnt lgkmcnt(0)
	v_mul_f32_e32 v161, v131, v1
	v_mul_f32_e32 v184, v130, v1
	v_fma_f32 v183, v130, v0, -v161
	buffer_store_dword v0, off, s[20:23], 0 offset:300 ; 4-byte Folded Spill
	buffer_store_dword v1, off, s[20:23], 0 offset:304 ; 4-byte Folded Spill
	buffer_store_dword v2, off, s[20:23], 0 offset:308 ; 4-byte Folded Spill
	buffer_store_dword v3, off, s[20:23], 0 offset:312 ; 4-byte Folded Spill
	ds_read2_b64 v[170:173], v249 offset1:51
	v_add_f32_e32 v130, v183, v132
	v_sub_f32_e32 v187, v183, v132
	s_waitcnt lgkmcnt(0)
	v_fma_f32 v130, -0.5, v130, v170
	v_add_f32_e32 v189, v172, v182
	v_add_f32_e32 v190, v173, v181
	v_fmac_f32_e32 v184, v131, v0
	v_add_f32_e32 v131, v184, v133
	v_sub_f32_e32 v162, v184, v133
	v_add_f32_e32 v191, v171, v184
	v_sub_f32_e32 v184, v140, v137
	v_fma_f32 v131, -0.5, v131, v171
	v_fmamk_f32 v161, v162, 0x3f5db3d7, v130
	v_fmac_f32_e32 v130, 0xbf5db3d7, v162
	v_fmamk_f32 v162, v187, 0xbf5db3d7, v131
	v_fmac_f32_e32 v131, 0x3f5db3d7, v187
	v_add_f32_e32 v187, v182, v134
	v_fma_f32 v172, -0.5, v187, v172
	v_add_f32_e32 v187, v181, v135
	v_fmac_f32_e32 v173, -0.5, v187
	v_sub_f32_e32 v187, v181, v135
	v_fmamk_f32 v181, v187, 0x3f5db3d7, v172
	v_fmac_f32_e32 v172, 0xbf5db3d7, v187
	v_sub_f32_e32 v187, v182, v134
	v_fmamk_f32 v182, v187, 0xbf5db3d7, v173
	v_fmac_f32_e32 v173, 0x3f5db3d7, v187
	v_add_f32_e32 v187, v170, v183
	ds_write2_b64 v177, v[130:131], v[172:173] offset0:98 offset1:149
	ds_read2_b64 v[170:173], v249 offset0:102 offset1:153
	v_add_f32_e32 v130, v139, v136
	v_add_f32_e32 v131, v140, v137
	s_waitcnt lgkmcnt(0)
	v_fma_f32 v130, -0.5, v130, v170
	v_fma_f32 v131, -0.5, v131, v171
	v_add_f32_e32 v193, v172, v186
	v_add_f32_e32 v194, v173, v185
	;; [unrolled: 1-line block ×3, first 2 shown]
	v_fmamk_f32 v183, v184, 0x3f5db3d7, v130
	v_fmac_f32_e32 v130, 0xbf5db3d7, v184
	v_fmamk_f32 v184, v192, 0xbf5db3d7, v131
	v_fmac_f32_e32 v131, 0x3f5db3d7, v192
	v_add_f32_e32 v192, v186, v141
	v_add_f32_e32 v140, v171, v140
	v_fma_f32 v172, -0.5, v192, v172
	v_add_f32_e32 v192, v185, v142
	v_fmac_f32_e32 v173, -0.5, v192
	v_sub_f32_e32 v192, v185, v142
	v_fmamk_f32 v185, v192, 0x3f5db3d7, v172
	v_fmac_f32_e32 v172, 0xbf5db3d7, v192
	v_sub_f32_e32 v192, v186, v141
	v_fmamk_f32 v186, v192, 0xbf5db3d7, v173
	v_fmac_f32_e32 v173, 0x3f5db3d7, v192
	ds_write2_b64 v177, v[130:131], v[172:173] offset0:200 offset1:251
	v_add_f32_e32 v130, v187, v132
	v_add_f32_e32 v131, v191, v133
	;; [unrolled: 1-line block ×4, first 2 shown]
	ds_write2_b64 v249, v[130:131], v[132:133] offset1:51
	ds_write2_b64 v180, v[181:182], v[183:184] offset0:100 offset1:151
	v_add_f32_e32 v130, v139, v136
	v_add_f32_e32 v131, v140, v137
	;; [unrolled: 1-line block ×6, first 2 shown]
	v_sub_f32_e32 v139, v146, v148
	v_sub_f32_e32 v140, v145, v147
	ds_write2_b64 v249, v[130:131], v[132:133] offset0:102 offset1:153
	ds_read2_b64 v[130:133], v249 offset0:204 offset1:255
	s_waitcnt lgkmcnt(0)
	v_fma_f32 v134, -0.5, v134, v130
	v_fma_f32 v135, -0.5, v135, v131
	v_add_f32_e32 v130, v130, v145
	v_add_f32_e32 v131, v131, v146
	v_fmamk_f32 v136, v139, 0x3f5db3d7, v134
	v_fmamk_f32 v137, v140, 0xbf5db3d7, v135
	v_add_f32_e32 v130, v130, v147
	v_add_f32_e32 v131, v131, v148
	v_fmac_f32_e32 v134, 0xbf5db3d7, v139
	v_fmac_f32_e32 v135, 0x3f5db3d7, v140
	ds_write2_b64 v180, v[185:186], v[136:137] offset0:202 offset1:253
	v_add_f32_e32 v136, v132, v158
	v_add_f32_e32 v137, v133, v160
	v_sub_f32_e32 v139, v154, v163
	v_add_f32_e32 v136, v136, v143
	v_add_f32_e32 v137, v137, v144
	ds_write2_b64 v249, v[130:131], v[136:137] offset0:204 offset1:255
	ds_read_b64 v[130:131], v249 offset:13056
	s_waitcnt lgkmcnt(0)
	v_mul_f32_e32 v136, v131, v127
	v_mul_f32_e32 v171, v130, v127
	v_fma_f32 v170, v130, v126, -v136
	v_add_f32_e32 v130, v158, v143
	v_fmac_f32_e32 v171, v131, v126
	v_sub_f32_e32 v131, v160, v144
	v_sub_f32_e32 v136, v158, v143
	v_fma_f32 v132, -0.5, v130, v132
	v_add_f32_e32 v130, v160, v144
	ds_read2_b64 v[142:145], v179 offset0:50 offset1:101
	v_fmac_f32_e32 v133, -0.5, v130
	v_fmamk_f32 v130, v131, 0x3f5db3d7, v132
	v_fmac_f32_e32 v132, 0xbf5db3d7, v131
	v_fmamk_f32 v131, v136, 0xbf5db3d7, v133
	v_fmac_f32_e32 v133, 0x3f5db3d7, v136
	ds_write2_b64 v188, v[134:135], v[132:133] offset0:46 offset1:97
	v_add_f32_e32 v134, v149, v159
	v_sub_f32_e32 v135, v149, v159
	s_waitcnt lgkmcnt(1)
	v_add_f32_e32 v136, v143, v149
	v_add_f32_e32 v137, v142, v156
	v_fma_f32 v149, -0.5, v134, v143
	v_sub_f32_e32 v134, v156, v157
	v_sub_f32_e32 v143, v169, v155
	v_add_f32_e32 v141, v136, v159
	v_add_f32_e32 v136, v156, v157
	;; [unrolled: 1-line block ×3, first 2 shown]
	ds_read2_b64 v[156:159], v179 offset0:152 offset1:203
	v_fmamk_f32 v147, v134, 0xbf5db3d7, v149
	v_fmac_f32_e32 v149, 0x3f5db3d7, v134
	v_fma_f32 v148, -0.5, v136, v142
	v_add_f32_e32 v134, v152, v138
	v_sub_f32_e32 v137, v153, v150
	v_add_f32_e32 v136, v153, v150
	v_add_f32_e32 v142, v169, v155
	v_fmamk_f32 v146, v135, 0x3f5db3d7, v148
	v_fmac_f32_e32 v148, 0xbf5db3d7, v135
	v_add_f32_e32 v135, v144, v152
	v_fma_f32 v144, -0.5, v134, v144
	v_add_f32_e32 v134, v145, v153
	ds_write2_b64 v174, v[130:131], v[146:147] offset0:48 offset1:99
	v_add_f32_e32 v130, v128, v166
	v_add_f32_e32 v131, v129, v168
	;; [unrolled: 1-line block ×4, first 2 shown]
	v_fmac_f32_e32 v145, -0.5, v136
	v_add_f32_e32 v130, v130, v170
	v_add_f32_e32 v131, v131, v171
	s_waitcnt lgkmcnt(1)
	v_add_f32_e32 v136, v157, v164
	ds_write2_b64 v178, v[130:131], v[161:162] offset0:126 offset1:177
	v_fmamk_f32 v162, v137, 0x3f5db3d7, v144
	v_fmac_f32_e32 v144, 0xbf5db3d7, v137
	v_add_f32_e32 v137, v156, v154
	v_add_f32_e32 v161, v134, v150
	v_sub_f32_e32 v134, v152, v138
	v_add_f32_e32 v153, v136, v167
	v_add_f32_e32 v136, v154, v163
	;; [unrolled: 1-line block ×3, first 2 shown]
	v_fma_f32 v137, -0.5, v135, v157
	v_sub_f32_e32 v138, v164, v167
	v_fmamk_f32 v163, v134, 0xbf5db3d7, v145
	v_fma_f32 v136, -0.5, v136, v156
	v_fmac_f32_e32 v145, 0x3f5db3d7, v134
	v_fmamk_f32 v135, v139, 0xbf5db3d7, v137
	v_fmac_f32_e32 v137, 0x3f5db3d7, v139
	v_add_f32_e32 v139, v158, v165
	v_fmamk_f32 v134, v138, 0x3f5db3d7, v136
	v_fmac_f32_e32 v136, 0xbf5db3d7, v138
	v_add_f32_e32 v138, v165, v151
	v_add_f32_e32 v154, v139, v151
	;; [unrolled: 1-line block ×3, first 2 shown]
	v_fma_f32 v158, -0.5, v138, v158
	v_add_f32_e32 v138, v159, v169
	v_fmac_f32_e32 v159, -0.5, v142
	v_fma_f32 v128, -0.5, v139, v128
	v_add_f32_e32 v139, v168, v171
	v_fmamk_f32 v156, v143, 0x3f5db3d7, v158
	v_add_f32_e32 v155, v138, v155
	v_sub_f32_e32 v138, v165, v151
	v_fmac_f32_e32 v158, 0xbf5db3d7, v143
	v_fmac_f32_e32 v129, -0.5, v139
	v_sub_f32_e32 v139, v166, v170
	v_lshlrev_b32_e32 v166, 3, v244
	v_sub_f32_e32 v143, v168, v171
	v_fmamk_f32 v157, v138, 0xbf5db3d7, v159
	v_fmac_f32_e32 v159, 0x3f5db3d7, v138
	v_add_co_u32 v164, s0, s2, v166
	v_add_co_ci_u32_e64 v165, null, s3, 0, s0
	v_fmamk_f32 v142, v143, 0x3f5db3d7, v128
	v_add_co_u32 v138, s0, 0x800, v164
	v_fmac_f32_e32 v128, 0xbf5db3d7, v143
	v_fmamk_f32 v143, v139, 0xbf5db3d7, v129
	v_fmac_f32_e32 v129, 0x3f5db3d7, v139
	v_add_co_ci_u32_e64 v139, s0, 0, v165, s0
	ds_write2_b64 v179, v[140:141], v[160:161] offset0:50 offset1:101
	ds_write2_b64 v188, v[148:149], v[144:145] offset0:148 offset1:199
	;; [unrolled: 1-line block ×6, first 2 shown]
	ds_write_b64 v249, v[128:129] offset:13056
	s_waitcnt lgkmcnt(0)
	s_waitcnt_vscnt null, 0x0
	s_barrier
	buffer_gl0_inv
	s_clause 0x3
	global_load_dwordx2 v[150:151], v166, s[2:3]
	global_load_dwordx2 v[170:171], v166, s[2:3] offset:792
	global_load_dwordx2 v[172:173], v166, s[2:3] offset:1584
	global_load_dwordx2 v[182:183], v[138:139], off offset:328
	ds_read2_b64 v[166:169], v249 offset1:99
	s_waitcnt vmcnt(3) lgkmcnt(0)
	v_mul_f32_e32 v181, v167, v151
	v_mul_f32_e32 v185, v166, v151
	s_waitcnt vmcnt(2)
	v_mul_f32_e32 v151, v168, v171
	v_fma_f32 v184, v166, v150, -v181
	v_fmac_f32_e32 v185, v167, v150
	v_mul_f32_e32 v150, v169, v171
	v_fmac_f32_e32 v151, v169, v170
	v_add_nc_u32_e32 v181, 0x400, v249
	v_fma_f32 v150, v168, v170, -v150
	ds_write2_b64 v249, v[184:185], v[150:151] offset1:99
	ds_read2_b64 v[166:169], v181 offset0:70 offset1:169
	s_waitcnt vmcnt(1) lgkmcnt(0)
	v_mul_f32_e32 v150, v167, v173
	v_mul_f32_e32 v190, v166, v173
	s_waitcnt vmcnt(0)
	v_mul_f32_e32 v192, v168, v183
	v_fma_f32 v189, v166, v172, -v150
	v_mul_f32_e32 v150, v169, v183
	v_fmac_f32_e32 v190, v167, v172
	v_fmac_f32_e32 v192, v169, v182
	v_fma_f32 v191, v168, v182, -v150
	v_add_co_u32 v150, s0, 0x1000, v164
	v_add_co_ci_u32_e64 v151, s0, 0, v165, s0
	s_clause 0x3
	global_load_dwordx2 v[170:171], v[138:139], off offset:1120
	global_load_dwordx2 v[172:173], v[138:139], off offset:1912
	;; [unrolled: 1-line block ×4, first 2 shown]
	ds_read2_b64 v[166:169], v179 offset0:140 offset1:239
	s_waitcnt vmcnt(3) lgkmcnt(0)
	v_mul_f32_e32 v186, v167, v171
	v_mul_f32_e32 v194, v166, v171
	s_waitcnt vmcnt(2)
	v_mul_f32_e32 v198, v168, v173
	v_fma_f32 v193, v166, v170, -v186
	v_mul_f32_e32 v166, v169, v173
	v_fmac_f32_e32 v194, v167, v170
	v_fmac_f32_e32 v198, v169, v172
	v_fma_f32 v197, v168, v172, -v166
	ds_read2_b64 v[166:169], v180 offset0:82 offset1:181
	s_waitcnt vmcnt(1) lgkmcnt(0)
	v_mul_f32_e32 v170, v167, v183
	v_mul_f32_e32 v200, v166, v183
	s_waitcnt vmcnt(0)
	v_mul_f32_e32 v202, v168, v185
	v_fma_f32 v199, v166, v182, -v170
	v_mul_f32_e32 v166, v169, v185
	v_fmac_f32_e32 v202, v169, v184
	v_fmac_f32_e32 v200, v167, v182
	v_fma_f32 v201, v168, v184, -v166
	v_add_co_u32 v168, s0, 0x1800, v164
	v_add_co_ci_u32_e64 v169, s0, 0, v165, s0
	v_add_co_u32 v166, s0, 0x2000, v164
	v_add_co_ci_u32_e64 v167, s0, 0, v165, s0
	s_clause 0x3
	global_load_dwordx2 v[182:183], v[168:169], off offset:192
	global_load_dwordx2 v[184:185], v[168:169], off offset:984
	;; [unrolled: 1-line block ×4, first 2 shown]
	ds_read2_b64 v[170:173], v174 offset0:24 offset1:123
	s_waitcnt vmcnt(3) lgkmcnt(0)
	v_mul_f32_e32 v195, v171, v183
	v_mul_f32_e32 v206, v170, v183
	s_waitcnt vmcnt(2)
	v_mul_f32_e32 v211, v172, v185
	v_fma_f32 v205, v170, v182, -v195
	v_mul_f32_e32 v170, v173, v185
	v_fmac_f32_e32 v206, v171, v182
	v_fmac_f32_e32 v211, v173, v184
	v_fma_f32 v210, v172, v184, -v170
	ds_read2_b64 v[170:173], v175 offset0:94 offset1:193
	s_waitcnt vmcnt(1) lgkmcnt(0)
	v_mul_f32_e32 v182, v171, v187
	v_mul_f32_e32 v213, v170, v187
	s_waitcnt vmcnt(0)
	v_mul_f32_e32 v215, v172, v204
	v_fma_f32 v212, v170, v186, -v182
	v_mul_f32_e32 v170, v173, v204
	v_fmac_f32_e32 v213, v171, v186
	v_fmac_f32_e32 v215, v173, v203
	v_add_nc_u32_e32 v182, 0x2400, v249
	v_fma_f32 v214, v172, v203, -v170
	v_add_co_u32 v170, s0, 0x2800, v164
	v_add_co_ci_u32_e64 v171, s0, 0, v165, s0
	s_clause 0x3
	global_load_dwordx2 v[172:173], v[166:167], off offset:1312
	global_load_dwordx2 v[203:204], v[170:171], off offset:56
	global_load_dwordx2 v[216:217], v[170:171], off offset:848
	global_load_dwordx2 v[218:219], v[170:171], off offset:1640
	ds_read2_b64 v[183:186], v182 offset0:36 offset1:135
	s_waitcnt vmcnt(3) lgkmcnt(0)
	v_mul_f32_e32 v187, v184, v173
	v_mul_f32_e32 v221, v183, v173
	s_waitcnt vmcnt(2)
	v_mul_f32_e32 v248, v185, v204
	v_fma_f32 v220, v183, v172, -v187
	v_fmac_f32_e32 v221, v184, v172
	v_mul_f32_e32 v172, v186, v204
	v_fmac_f32_e32 v248, v186, v203
	v_fma_f32 v247, v185, v203, -v172
	ds_read2_b64 v[183:186], v188 offset0:106 offset1:205
	ds_write2_b64 v181, v[189:190], v[191:192] offset0:70 offset1:169
	ds_write2_b64 v179, v[193:194], v[197:198] offset0:140 offset1:239
	;; [unrolled: 1-line block ×3, first 2 shown]
	ds_read_b64 v[189:190], v249 offset:12672
	s_waitcnt vmcnt(1) lgkmcnt(4)
	v_mul_f32_e32 v172, v184, v217
	v_mul_f32_e32 v204, v183, v217
	v_fma_f32 v203, v183, v216, -v172
	s_waitcnt vmcnt(0)
	v_mul_f32_e32 v172, v186, v219
	v_fmac_f32_e32 v204, v184, v216
	v_mul_f32_e32 v184, v185, v219
	v_fma_f32 v183, v185, v218, -v172
	v_add_co_u32 v172, s0, 0x3000, v164
	v_add_co_ci_u32_e64 v173, s0, 0, v165, s0
	v_fmac_f32_e32 v184, v186, v218
	global_load_dwordx2 v[185:186], v[172:173], off offset:384
	s_waitcnt vmcnt(0) lgkmcnt(0)
	v_mul_f32_e32 v187, v190, v186
	v_mul_f32_e32 v192, v189, v186
	v_fma_f32 v191, v189, v185, -v187
	v_fmac_f32_e32 v192, v190, v185
	ds_write2_b64 v174, v[205:206], v[210:211] offset0:24 offset1:123
	ds_write2_b64 v175, v[212:213], v[214:215] offset0:94 offset1:193
	;; [unrolled: 1-line block ×4, first 2 shown]
	ds_write_b64 v249, v[191:192] offset:12672
	s_and_saveexec_b32 s0, vcc_lo
	s_cbranch_execz .LBB0_9
; %bb.8:
	s_clause 0xd
	global_load_dwordx2 v[183:184], v[164:165], off offset:408
	global_load_dwordx2 v[185:186], v[164:165], off offset:1200
	;; [unrolled: 1-line block ×14, first 2 shown]
	v_lshl_or_b32 v164, v244, 3, 0x3000
	s_clause 0x2
	global_load_dwordx2 v[224:225], v[170:171], off offset:1256
	global_load_dwordx2 v[226:227], v164, s[2:3]
	global_load_dwordx2 v[172:173], v[172:173], off offset:792
	ds_read2_b64 v[164:167], v249 offset0:51 offset1:150
	s_waitcnt vmcnt(16) lgkmcnt(0)
	v_mul_f32_e32 v168, v165, v184
	v_mul_f32_e32 v169, v164, v184
	s_waitcnt vmcnt(15)
	v_mul_f32_e32 v170, v167, v186
	v_mul_f32_e32 v171, v166, v186
	v_fma_f32 v168, v164, v183, -v168
	v_fmac_f32_e32 v169, v165, v183
	v_fma_f32 v170, v166, v185, -v170
	v_fmac_f32_e32 v171, v167, v185
	ds_write2_b64 v249, v[168:169], v[170:171] offset0:51 offset1:150
	ds_read2_b64 v[164:167], v181 offset0:121 offset1:220
	ds_read2_b64 v[168:171], v178 offset0:63 offset1:162
	;; [unrolled: 1-line block ×7, first 2 shown]
	ds_read_b64 v[228:229], v249 offset:13080
	s_waitcnt vmcnt(14) lgkmcnt(7)
	v_mul_f32_e32 v187, v165, v194
	v_mul_f32_e32 v195, v164, v194
	s_waitcnt vmcnt(13)
	v_mul_f32_e32 v250, v167, v206
	v_mul_f32_e32 v207, v166, v206
	s_waitcnt vmcnt(12) lgkmcnt(6)
	v_mul_f32_e32 v230, v169, v139
	v_fma_f32 v194, v164, v193, -v187
	v_fmac_f32_e32 v195, v165, v193
	v_mul_f32_e32 v165, v168, v139
	s_waitcnt vmcnt(11)
	v_mul_f32_e32 v187, v171, v215
	v_fma_f32 v206, v166, v205, -v250
	v_fmac_f32_e32 v207, v167, v205
	v_mul_f32_e32 v139, v170, v215
	s_waitcnt vmcnt(10) lgkmcnt(5)
	v_mul_f32_e32 v166, v184, v217
	v_mul_f32_e32 v167, v183, v217
	s_waitcnt vmcnt(9)
	v_mul_f32_e32 v193, v186, v151
	v_fma_f32 v164, v168, v138, -v230
	v_mul_f32_e32 v215, v185, v151
	v_fmac_f32_e32 v165, v169, v138
	s_waitcnt vmcnt(8) lgkmcnt(4)
	v_mul_f32_e32 v168, v190, v219
	v_fma_f32 v138, v170, v214, -v187
	v_mul_f32_e32 v151, v189, v219
	s_waitcnt vmcnt(7)
	v_mul_f32_e32 v170, v192, v221
	v_mul_f32_e32 v169, v191, v221
	v_fmac_f32_e32 v139, v171, v214
	s_waitcnt vmcnt(6) lgkmcnt(3)
	v_mul_f32_e32 v187, v198, v248
	v_mul_f32_e32 v171, v197, v248
	v_fma_f32 v166, v183, v216, -v166
	s_waitcnt vmcnt(5)
	v_mul_f32_e32 v183, v200, v253
	v_fmac_f32_e32 v167, v184, v216
	v_mul_f32_e32 v184, v199, v253
	v_fma_f32 v214, v185, v150, -v193
	s_waitcnt vmcnt(4) lgkmcnt(2)
	v_mul_f32_e32 v185, v202, v255
	v_fmac_f32_e32 v215, v186, v150
	v_mul_f32_e32 v186, v201, v255
	s_waitcnt vmcnt(3)
	v_mul_f32_e32 v216, v204, v223
	v_mul_f32_e32 v193, v203, v223
	s_waitcnt vmcnt(2) lgkmcnt(1)
	v_mul_f32_e32 v219, v211, v225
	v_fma_f32 v150, v189, v218, -v168
	v_fmac_f32_e32 v151, v190, v218
	v_mul_f32_e32 v190, v210, v225
	s_waitcnt vmcnt(1)
	v_mul_f32_e32 v218, v213, v227
	v_fma_f32 v168, v191, v220, -v170
	v_mul_f32_e32 v205, v212, v227
	s_waitcnt vmcnt(0) lgkmcnt(0)
	v_mul_f32_e32 v191, v229, v173
	v_mul_f32_e32 v217, v228, v173
	v_fmac_f32_e32 v169, v192, v220
	v_fma_f32 v170, v197, v247, -v187
	v_fmac_f32_e32 v171, v198, v247
	v_fma_f32 v183, v199, v252, -v183
	v_fmac_f32_e32 v184, v200, v252
	v_fma_f32 v185, v201, v254, -v185
	v_fmac_f32_e32 v186, v202, v254
	v_fma_f32 v192, v203, v222, -v216
	v_fmac_f32_e32 v193, v204, v222
	v_fma_f32 v189, v210, v224, -v219
	v_fmac_f32_e32 v190, v211, v224
	v_fma_f32 v204, v212, v226, -v218
	v_fmac_f32_e32 v205, v213, v226
	v_fma_f32 v216, v228, v172, -v191
	v_fmac_f32_e32 v217, v229, v172
	ds_write2_b64 v181, v[194:195], v[206:207] offset0:121 offset1:220
	ds_write2_b64 v178, v[164:165], v[138:139] offset0:63 offset1:162
	ds_write2_b64 v180, v[166:167], v[214:215] offset0:133 offset1:232
	ds_write2_b64 v174, v[150:151], v[168:169] offset0:75 offset1:174
	ds_write2_b64 v177, v[170:171], v[183:184] offset0:17 offset1:116
	ds_write2_b64 v182, v[185:186], v[192:193] offset0:87 offset1:186
	ds_write2_b64 v176, v[189:190], v[204:205] offset0:29 offset1:128
	ds_write_b64 v249, v[216:217] offset:13080
.LBB0_9:
	s_or_b32 exec_lo, exec_lo, s0
	s_waitcnt lgkmcnt(0)
	s_barrier
	buffer_gl0_inv
	ds_read2_b64 v[184:187], v249 offset1:99
	ds_read2_b64 v[192:195], v181 offset0:70 offset1:169
	ds_read2_b64 v[176:179], v179 offset0:140 offset1:239
	;; [unrolled: 1-line block ×7, first 2 shown]
	ds_read_b64 v[247:248], v249 offset:12672
	s_and_saveexec_b32 s0, vcc_lo
	s_cbranch_execz .LBB0_11
; %bb.10:
	v_add_nc_u32_e32 v132, 0x2c00, v249
	v_add_nc_u32_e32 v128, 0x2400, v249
	v_add_nc_u32_e32 v133, 0x1000, v249
	v_add_nc_u32_e32 v134, 0x400, v249
	ds_read2_b64 v[138:141], v249 offset0:51 offset1:150
	ds_read2_b64 v[142:145], v132 offset0:29 offset1:128
	v_add_nc_u32_e32 v132, 0xc00, v249
	ds_read2_b64 v[128:131], v128 offset0:87 offset1:186
	ds_read2_b64 v[150:153], v133 offset0:133 offset1:232
	v_add_nc_u32_e32 v133, 0x1800, v249
	v_add_nc_u32_e32 v154, 0x2000, v249
	ds_read_b64 v[245:246], v249 offset:13080
	ds_read2_b64 v[146:149], v134 offset0:121 offset1:220
	ds_read2_b64 v[160:163], v132 offset0:63 offset1:162
	ds_read2_b64 v[134:137], v133 offset0:75 offset1:174
	ds_read2_b64 v[154:157], v154 offset0:17 offset1:116
	s_waitcnt lgkmcnt(8)
	v_mov_b32_e32 v132, v138
	v_mov_b32_e32 v133, v139
	s_waitcnt lgkmcnt(6)
	v_mov_b32_e32 v158, v128
	v_mov_b32_e32 v159, v129
	;; [unrolled: 1-line block ×4, first 2 shown]
	s_waitcnt lgkmcnt(5)
	v_mov_b32_e32 v144, v150
	v_mov_b32_e32 v145, v151
.LBB0_11:
	s_or_b32 exec_lo, exec_lo, s0
	s_waitcnt lgkmcnt(8)
	v_add_f32_e32 v138, v184, v186
	v_add_f32_e32 v139, v185, v187
	s_waitcnt lgkmcnt(0)
	v_sub_f32_e32 v151, v187, v248
	v_add_f32_e32 v187, v248, v187
	v_add_f32_e32 v150, v247, v186
	;; [unrolled: 1-line block ×4, first 2 shown]
	v_sub_f32_e32 v186, v186, v247
	v_mul_f32_e32 v201, 0xbeb8f4ab, v151
	v_mul_f32_e32 v202, 0x3f6eb680, v187
	v_add_f32_e32 v138, v138, v194
	v_add_f32_e32 v139, v139, v195
	v_mul_f32_e32 v203, 0xbf2c7751, v151
	v_mul_f32_e32 v204, 0x3f3d2fb0, v187
	v_mul_f32_e32 v205, 0xbf65296c, v151
	v_add_f32_e32 v138, v138, v176
	v_add_f32_e32 v139, v139, v177
	v_mul_f32_e32 v206, 0x3ee437d1, v187
	;; [unrolled: 5-line block ×4, first 2 shown]
	v_sub_f32_e32 v197, v193, v191
	v_mul_f32_e32 v212, 0xbe8c1d8e, v187
	v_add_f32_e32 v138, v138, v170
	v_add_f32_e32 v139, v139, v171
	v_mul_f32_e32 v214, 0xbf1a4643, v187
	v_fmamk_f32 v215, v150, 0x3f6eb680, v201
	v_fmamk_f32 v216, v186, 0x3eb8f4ab, v202
	v_add_f32_e32 v138, v138, v164
	v_add_f32_e32 v139, v139, v165
	v_fmamk_f32 v217, v150, 0x3f3d2fb0, v203
	v_fmamk_f32 v218, v186, 0x3f2c7751, v204
	;; [unrolled: 1-line block ×3, first 2 shown]
	v_add_f32_e32 v138, v138, v166
	v_add_f32_e32 v139, v139, v167
	v_fmamk_f32 v220, v186, 0x3f65296c, v206
	v_fmamk_f32 v221, v150, 0x3dbcf732, v207
	;; [unrolled: 1-line block ×3, first 2 shown]
	v_add_f32_e32 v138, v138, v172
	v_add_f32_e32 v139, v139, v173
	v_mul_f32_e32 v224, 0xbf59a7d5, v187
	v_fmamk_f32 v225, v150, 0xbf59a7d5, v223
	v_mul_f32_e32 v187, 0xbf7ba420, v187
	v_add_f32_e32 v138, v138, v174
	v_add_f32_e32 v139, v139, v175
	v_fmamk_f32 v226, v150, 0xbf7ba420, v151
	v_add_f32_e32 v193, v191, v193
	v_add_f32_e32 v198, v190, v192
	;; [unrolled: 1-line block ×4, first 2 shown]
	v_sub_f32_e32 v192, v192, v190
	v_sub_f32_e32 v199, v195, v189
	v_add_f32_e32 v200, v188, v194
	v_add_f32_e32 v138, v138, v182
	;; [unrolled: 1-line block ×4, first 2 shown]
	v_sub_f32_e32 v194, v194, v188
	v_fma_f32 v201, 0x3f6eb680, v150, -v201
	v_add_f32_e32 v138, v138, v188
	v_add_f32_e32 v139, v139, v189
	v_fmac_f32_e32 v202, 0xbeb8f4ab, v186
	v_fma_f32 v203, 0x3f3d2fb0, v150, -v203
	v_fmac_f32_e32 v204, 0xbf2c7751, v186
	v_fma_f32 v205, 0x3ee437d1, v150, -v205
	;; [unrolled: 2-line block ×3, first 2 shown]
	v_fmac_f32_e32 v210, 0xbf7ee86f, v186
	v_fmamk_f32 v189, v150, 0xbe8c1d8e, v211
	v_add_f32_e32 v138, v138, v190
	v_add_f32_e32 v139, v139, v191
	v_fmamk_f32 v190, v186, 0x3f763a35, v212
	v_fma_f32 v191, 0xbe8c1d8e, v150, -v211
	v_fmac_f32_e32 v212, 0xbf763a35, v186
	v_fmamk_f32 v207, v150, 0xbf1a4643, v213
	v_fmamk_f32 v211, v186, 0x3f4c4adb, v214
	v_fma_f32 v213, 0xbf1a4643, v150, -v213
	v_fmac_f32_e32 v214, 0xbf4c4adb, v186
	v_fma_f32 v223, 0xbf59a7d5, v150, -v223
	v_fma_f32 v150, 0xbf7ba420, v150, -v151
	v_fmamk_f32 v151, v186, 0x3f06c442, v224
	v_fmac_f32_e32 v224, 0xbf06c442, v186
	v_fmamk_f32 v227, v186, 0x3e3c28d5, v187
	v_fmac_f32_e32 v187, 0xbe3c28d5, v186
	v_add_f32_e32 v186, v184, v215
	v_add_f32_e32 v215, v185, v216
	;; [unrolled: 1-line block ×10, first 2 shown]
	v_mul_f32_e32 v226, 0xbf2c7751, v197
	v_add_f32_e32 v201, v184, v201
	v_add_f32_e32 v202, v185, v202
	;; [unrolled: 1-line block ×21, first 2 shown]
	v_mul_f32_e32 v184, 0x3f3d2fb0, v193
	v_add_f32_e32 v185, v185, v187
	v_fmamk_f32 v187, v198, 0x3f3d2fb0, v226
	v_mul_f32_e32 v229, 0xbf7ee86f, v197
	v_mul_f32_e32 v230, 0xbf1a4643, v193
	v_fmamk_f32 v228, v192, 0x3f2c7751, v184
	v_fmac_f32_e32 v184, 0xbf2c7751, v192
	v_add_f32_e32 v186, v187, v186
	v_fma_f32 v187, 0x3f3d2fb0, v198, -v226
	v_fmamk_f32 v226, v198, 0x3dbcf732, v229
	v_add_f32_e32 v215, v228, v215
	v_mul_f32_e32 v228, 0x3dbcf732, v193
	v_add_f32_e32 v184, v184, v202
	v_add_f32_e32 v187, v187, v201
	v_mul_f32_e32 v201, 0xbf4c4adb, v197
	v_add_f32_e32 v202, v226, v216
	v_fmamk_f32 v216, v192, 0x3f7ee86f, v228
	v_fma_f32 v226, 0x3dbcf732, v198, -v229
	v_fmac_f32_e32 v228, 0xbf7ee86f, v192
	v_fmamk_f32 v229, v198, 0xbf1a4643, v201
	v_fma_f32 v201, 0xbf1a4643, v198, -v201
	v_add_f32_e32 v216, v216, v217
	v_add_f32_e32 v203, v226, v203
	;; [unrolled: 1-line block ×4, first 2 shown]
	v_fmamk_f32 v218, v192, 0x3f4c4adb, v230
	v_mul_f32_e32 v226, 0xbe3c28d5, v197
	v_fmac_f32_e32 v230, 0xbf4c4adb, v192
	v_mul_f32_e32 v228, 0xbf7ba420, v193
	v_add_f32_e32 v201, v201, v205
	v_add_f32_e32 v218, v218, v219
	v_fmamk_f32 v219, v198, 0xbf7ba420, v226
	v_add_f32_e32 v205, v230, v206
	v_fmamk_f32 v206, v192, 0x3e3c28d5, v228
	v_mul_f32_e32 v229, 0x3f06c442, v197
	v_fmac_f32_e32 v228, 0xbe3c28d5, v192
	v_add_f32_e32 v219, v219, v220
	v_fma_f32 v220, 0xbf7ba420, v198, -v226
	v_add_f32_e32 v206, v206, v221
	v_fmamk_f32 v221, v198, 0xbf59a7d5, v229
	v_mul_f32_e32 v226, 0xbf59a7d5, v193
	v_mul_f32_e32 v230, 0xbe8c1d8e, v193
	v_add_f32_e32 v188, v220, v188
	v_add_f32_e32 v210, v228, v210
	v_add_f32_e32 v189, v221, v189
	v_fmamk_f32 v221, v192, 0xbf06c442, v226
	v_fmac_f32_e32 v226, 0x3f06c442, v192
	v_mul_f32_e32 v220, 0x3f763a35, v197
	v_fma_f32 v228, 0xbf59a7d5, v198, -v229
	v_add_f32_e32 v138, v138, v247
	v_add_f32_e32 v190, v221, v190
	;; [unrolled: 1-line block ×3, first 2 shown]
	v_fmamk_f32 v221, v192, 0xbf763a35, v230
	v_mul_f32_e32 v226, 0x3f65296c, v197
	v_fmamk_f32 v229, v198, 0xbe8c1d8e, v220
	v_add_f32_e32 v191, v228, v191
	v_fma_f32 v220, 0xbe8c1d8e, v198, -v220
	v_mul_f32_e32 v228, 0x3ee437d1, v193
	v_add_f32_e32 v211, v221, v211
	v_fmamk_f32 v221, v198, 0x3ee437d1, v226
	v_mul_f32_e32 v197, 0x3eb8f4ab, v197
	v_add_f32_e32 v213, v220, v213
	v_fmamk_f32 v220, v192, 0xbf65296c, v228
	v_fmac_f32_e32 v228, 0x3f65296c, v192
	v_add_f32_e32 v221, v221, v222
	v_fma_f32 v222, 0x3ee437d1, v198, -v226
	v_mul_f32_e32 v193, 0x3f6eb680, v193
	v_add_f32_e32 v151, v220, v151
	v_fmamk_f32 v220, v198, 0x3f6eb680, v197
	v_fmac_f32_e32 v230, 0x3f763a35, v192
	v_add_f32_e32 v222, v222, v223
	v_add_f32_e32 v223, v228, v224
	v_mul_f32_e32 v224, 0xbf65296c, v199
	v_add_f32_e32 v220, v220, v225
	v_fmamk_f32 v225, v192, 0xbeb8f4ab, v193
	v_fma_f32 v197, 0x3f6eb680, v198, -v197
	v_fmac_f32_e32 v193, 0x3eb8f4ab, v192
	v_fmamk_f32 v192, v200, 0x3ee437d1, v224
	v_mul_f32_e32 v198, 0x3ee437d1, v195
	v_mul_f32_e32 v226, 0xbe8c1d8e, v195
	v_add_f32_e32 v150, v197, v150
	v_add_f32_e32 v185, v193, v185
	;; [unrolled: 1-line block ×3, first 2 shown]
	v_fmamk_f32 v192, v194, 0x3f65296c, v198
	v_mul_f32_e32 v193, 0xbf4c4adb, v199
	v_fma_f32 v197, 0x3ee437d1, v200, -v224
	v_fmac_f32_e32 v198, 0xbf65296c, v194
	v_mul_f32_e32 v224, 0xbf1a4643, v195
	v_add_f32_e32 v192, v192, v215
	v_fmamk_f32 v215, v200, 0xbf1a4643, v193
	v_add_f32_e32 v187, v197, v187
	v_add_f32_e32 v184, v198, v184
	v_fmamk_f32 v197, v194, 0x3f4c4adb, v224
	v_mul_f32_e32 v198, 0x3e3c28d5, v199
	v_fma_f32 v193, 0xbf1a4643, v200, -v193
	v_fmac_f32_e32 v224, 0xbf4c4adb, v194
	v_add_f32_e32 v202, v215, v202
	v_add_f32_e32 v197, v197, v216
	v_fmamk_f32 v215, v200, 0xbf7ba420, v198
	v_mul_f32_e32 v216, 0xbf7ba420, v195
	v_add_f32_e32 v193, v193, v203
	v_add_f32_e32 v203, v224, v204
	v_mul_f32_e32 v204, 0x3f763a35, v199
	v_add_f32_e32 v215, v215, v217
	v_fmamk_f32 v217, v194, 0xbe3c28d5, v216
	v_fma_f32 v198, 0xbf7ba420, v200, -v198
	v_fmac_f32_e32 v216, 0x3e3c28d5, v194
	v_fmamk_f32 v224, v200, 0xbe8c1d8e, v204
	v_fma_f32 v204, 0xbe8c1d8e, v200, -v204
	v_add_f32_e32 v217, v217, v218
	v_add_f32_e32 v198, v198, v201
	;; [unrolled: 1-line block ×4, first 2 shown]
	v_fmamk_f32 v216, v194, 0xbf763a35, v226
	v_mul_f32_e32 v218, 0x3f2c7751, v199
	v_fmac_f32_e32 v226, 0x3f763a35, v194
	v_mul_f32_e32 v219, 0x3f3d2fb0, v195
	v_add_f32_e32 v188, v204, v188
	v_add_f32_e32 v206, v216, v206
	v_fmamk_f32 v216, v200, 0x3f3d2fb0, v218
	v_add_f32_e32 v204, v226, v210
	v_fmamk_f32 v210, v194, 0xbf2c7751, v219
	v_mul_f32_e32 v224, 0xbeb8f4ab, v199
	v_add_f32_e32 v207, v229, v207
	v_add_f32_e32 v189, v216, v189
	v_fma_f32 v216, 0x3f3d2fb0, v200, -v218
	v_fmac_f32_e32 v219, 0x3f2c7751, v194
	v_add_f32_e32 v190, v210, v190
	v_fmamk_f32 v210, v200, 0x3f6eb680, v224
	v_mul_f32_e32 v218, 0x3f6eb680, v195
	v_add_f32_e32 v214, v230, v214
	v_add_f32_e32 v191, v216, v191
	;; [unrolled: 1-line block ×3, first 2 shown]
	v_mul_f32_e32 v216, 0xbf7ee86f, v199
	v_add_f32_e32 v207, v210, v207
	v_fmamk_f32 v210, v194, 0x3eb8f4ab, v218
	v_fma_f32 v219, 0x3f6eb680, v200, -v224
	v_fmac_f32_e32 v218, 0xbeb8f4ab, v194
	v_mul_f32_e32 v226, 0x3dbcf732, v195
	v_fmamk_f32 v224, v200, 0x3dbcf732, v216
	v_add_f32_e32 v210, v210, v211
	v_add_f32_e32 v211, v219, v213
	;; [unrolled: 1-line block ×3, first 2 shown]
	v_fmamk_f32 v218, v194, 0x3f7ee86f, v226
	v_mul_f32_e32 v199, 0xbf06c442, v199
	v_fma_f32 v216, 0x3dbcf732, v200, -v216
	v_mul_f32_e32 v195, 0xbf59a7d5, v195
	v_fmac_f32_e32 v226, 0xbf7ee86f, v194
	v_add_f32_e32 v151, v218, v151
	v_fmamk_f32 v218, v200, 0xbf59a7d5, v199
	v_add_f32_e32 v216, v216, v222
	v_sub_f32_e32 v222, v177, v183
	v_add_f32_e32 v177, v183, v177
	v_fmamk_f32 v219, v194, 0x3f06c442, v195
	v_add_f32_e32 v218, v218, v220
	v_add_f32_e32 v220, v182, v176
	v_mul_f32_e32 v183, 0xbf7ee86f, v222
	v_fma_f32 v199, 0xbf59a7d5, v200, -v199
	v_fmac_f32_e32 v195, 0xbf06c442, v194
	v_sub_f32_e32 v176, v176, v182
	v_mul_f32_e32 v182, 0x3dbcf732, v177
	v_fmamk_f32 v194, v220, 0x3dbcf732, v183
	v_add_f32_e32 v150, v199, v150
	v_add_f32_e32 v185, v195, v185
	v_mul_f32_e32 v195, 0xbe3c28d5, v222
	v_fmamk_f32 v199, v176, 0x3f7ee86f, v182
	v_fma_f32 v183, 0x3dbcf732, v220, -v183
	v_add_f32_e32 v186, v194, v186
	v_fmac_f32_e32 v182, 0xbf7ee86f, v176
	v_fmamk_f32 v194, v220, 0xbf7ba420, v195
	v_add_f32_e32 v192, v199, v192
	v_mul_f32_e32 v199, 0xbf7ba420, v177
	v_add_f32_e32 v183, v183, v187
	v_mul_f32_e32 v187, 0x3f763a35, v222
	v_add_f32_e32 v182, v182, v184
	v_add_f32_e32 v184, v194, v202
	v_fmamk_f32 v194, v176, 0x3e3c28d5, v199
	v_fma_f32 v195, 0xbf7ba420, v220, -v195
	v_fmac_f32_e32 v199, 0xbe3c28d5, v176
	v_mul_f32_e32 v200, 0xbe8c1d8e, v177
	v_fmamk_f32 v202, v220, 0xbe8c1d8e, v187
	v_add_f32_e32 v194, v194, v197
	v_add_f32_e32 v193, v195, v193
	;; [unrolled: 1-line block ×3, first 2 shown]
	v_fmamk_f32 v197, v176, 0xbf763a35, v200
	v_add_f32_e32 v199, v202, v215
	v_mul_f32_e32 v202, 0x3eb8f4ab, v222
	v_fma_f32 v187, 0xbe8c1d8e, v220, -v187
	v_fmac_f32_e32 v200, 0x3f763a35, v176
	v_mul_f32_e32 v203, 0x3f6eb680, v177
	v_add_f32_e32 v197, v197, v217
	v_fmamk_f32 v215, v220, 0x3f6eb680, v202
	v_add_f32_e32 v187, v187, v198
	v_add_f32_e32 v198, v200, v201
	v_mul_f32_e32 v200, 0xbf65296c, v222
	v_fmamk_f32 v201, v176, 0xbeb8f4ab, v203
	v_add_f32_e32 v205, v215, v205
	v_fma_f32 v202, 0x3f6eb680, v220, -v202
	v_fmac_f32_e32 v203, 0x3eb8f4ab, v176
	v_fmamk_f32 v215, v220, 0x3ee437d1, v200
	v_add_f32_e32 v201, v201, v206
	v_mul_f32_e32 v206, 0x3ee437d1, v177
	v_add_f32_e32 v188, v202, v188
	v_add_f32_e32 v202, v203, v204
	;; [unrolled: 1-line block ×3, first 2 shown]
	v_mul_f32_e32 v215, 0xbf59a7d5, v177
	v_fmamk_f32 v204, v176, 0x3f65296c, v206
	v_mul_f32_e32 v203, 0xbf06c442, v222
	v_fma_f32 v200, 0x3ee437d1, v220, -v200
	v_fmac_f32_e32 v206, 0xbf65296c, v176
	v_add_f32_e32 v225, v225, v227
	v_add_f32_e32 v190, v204, v190
	v_fmamk_f32 v204, v176, 0x3f06c442, v215
	v_fmamk_f32 v217, v220, 0xbf59a7d5, v203
	v_fma_f32 v203, 0xbf59a7d5, v220, -v203
	v_fmac_f32_e32 v215, 0xbf06c442, v176
	v_add_f32_e32 v191, v200, v191
	v_add_f32_e32 v204, v204, v210
	v_mul_f32_e32 v210, 0xbf1a4643, v177
	v_add_f32_e32 v200, v206, v212
	v_add_f32_e32 v206, v217, v207
	v_mul_f32_e32 v207, 0x3f4c4adb, v222
	v_add_f32_e32 v203, v203, v211
	v_add_f32_e32 v211, v215, v213
	v_fmamk_f32 v215, v176, 0xbf4c4adb, v210
	v_add_f32_e32 v214, v224, v221
	v_fmamk_f32 v212, v220, 0xbf1a4643, v207
	v_mul_f32_e32 v213, 0x3f2c7751, v222
	v_fma_f32 v207, 0xbf1a4643, v220, -v207
	v_add_f32_e32 v151, v215, v151
	v_mul_f32_e32 v177, 0x3f3d2fb0, v177
	v_sub_f32_e32 v215, v179, v181
	v_add_f32_e32 v179, v181, v179
	v_add_f32_e32 v219, v219, v225
	;; [unrolled: 1-line block ×3, first 2 shown]
	v_fmac_f32_e32 v210, 0x3f4c4adb, v176
	v_fmamk_f32 v214, v220, 0x3f3d2fb0, v213
	v_add_f32_e32 v207, v207, v216
	v_fmamk_f32 v216, v176, 0xbf2c7751, v177
	v_fma_f32 v213, 0x3f3d2fb0, v220, -v213
	v_add_f32_e32 v181, v180, v178
	v_mul_f32_e32 v217, 0xbf763a35, v215
	v_fmac_f32_e32 v177, 0x3f2c7751, v176
	v_sub_f32_e32 v176, v178, v180
	v_mul_f32_e32 v178, 0xbe8c1d8e, v179
	v_add_f32_e32 v180, v216, v219
	v_fmamk_f32 v216, v181, 0xbe8c1d8e, v217
	v_add_f32_e32 v150, v213, v150
	v_add_f32_e32 v177, v177, v185
	v_fmamk_f32 v185, v176, 0x3f763a35, v178
	v_mul_f32_e32 v213, 0x3f06c442, v215
	v_fmac_f32_e32 v178, 0xbf763a35, v176
	v_add_f32_e32 v186, v216, v186
	v_fma_f32 v216, 0xbe8c1d8e, v181, -v217
	v_add_f32_e32 v185, v185, v192
	v_fmamk_f32 v192, v181, 0xbf59a7d5, v213
	v_mul_f32_e32 v217, 0xbf59a7d5, v179
	v_add_f32_e32 v178, v178, v182
	v_mul_f32_e32 v182, 0x3f2c7751, v215
	v_add_f32_e32 v214, v214, v218
	v_add_f32_e32 v183, v216, v183
	;; [unrolled: 1-line block ×3, first 2 shown]
	v_fmamk_f32 v192, v176, 0xbf06c442, v217
	v_fma_f32 v213, 0xbf59a7d5, v181, -v213
	v_fmac_f32_e32 v217, 0x3f06c442, v176
	v_fmamk_f32 v216, v181, 0x3f3d2fb0, v182
	v_mul_f32_e32 v218, 0x3f3d2fb0, v179
	v_add_f32_e32 v192, v192, v194
	v_add_f32_e32 v193, v213, v193
	;; [unrolled: 1-line block ×4, first 2 shown]
	v_fmamk_f32 v199, v176, 0xbf2c7751, v218
	v_mul_f32_e32 v213, 0xbf65296c, v215
	v_fma_f32 v182, 0x3f3d2fb0, v181, -v182
	v_fmac_f32_e32 v218, 0x3f2c7751, v176
	v_mul_f32_e32 v216, 0x3ee437d1, v179
	v_add_f32_e32 v197, v199, v197
	v_fmamk_f32 v199, v181, 0x3ee437d1, v213
	v_add_f32_e32 v182, v182, v187
	v_add_f32_e32 v187, v218, v198
	v_fmamk_f32 v198, v176, 0x3f65296c, v216
	v_mul_f32_e32 v217, 0xbe3c28d5, v215
	v_add_f32_e32 v199, v199, v205
	v_fma_f32 v205, 0x3ee437d1, v181, -v213
	v_fmac_f32_e32 v216, 0xbf65296c, v176
	v_add_f32_e32 v198, v198, v201
	v_fmamk_f32 v201, v181, 0xbf7ba420, v217
	v_mul_f32_e32 v213, 0xbf7ba420, v179
	v_add_f32_e32 v188, v205, v188
	v_mul_f32_e32 v205, 0x3f7ee86f, v215
	v_add_f32_e32 v202, v216, v202
	v_add_f32_e32 v189, v201, v189
	v_fmamk_f32 v201, v176, 0x3e3c28d5, v213
	v_fma_f32 v216, 0xbf7ba420, v181, -v217
	v_fmac_f32_e32 v213, 0xbe3c28d5, v176
	v_fmamk_f32 v217, v181, 0x3dbcf732, v205
	v_mul_f32_e32 v218, 0x3dbcf732, v179
	v_add_f32_e32 v190, v201, v190
	v_add_f32_e32 v191, v216, v191
	;; [unrolled: 1-line block ×4, first 2 shown]
	v_fmamk_f32 v206, v176, 0xbf7ee86f, v218
	v_mul_f32_e32 v213, 0xbeb8f4ab, v215
	v_fma_f32 v205, 0x3dbcf732, v181, -v205
	v_mul_f32_e32 v216, 0x3f6eb680, v179
	v_add_f32_e32 v221, v226, v223
	v_add_f32_e32 v204, v206, v204
	v_fmamk_f32 v206, v181, 0x3f6eb680, v213
	v_add_f32_e32 v203, v205, v203
	v_fmamk_f32 v205, v176, 0x3eb8f4ab, v216
	v_mul_f32_e32 v215, 0xbf4c4adb, v215
	v_add_f32_e32 v210, v210, v221
	v_add_f32_e32 v206, v206, v212
	v_fma_f32 v212, 0x3f6eb680, v181, -v213
	v_add_f32_e32 v151, v205, v151
	v_fmac_f32_e32 v216, 0xbeb8f4ab, v176
	v_fmamk_f32 v205, v181, 0xbf1a4643, v215
	v_mul_f32_e32 v179, 0xbf1a4643, v179
	v_add_f32_e32 v207, v212, v207
	v_sub_f32_e32 v212, v169, v175
	v_add_f32_e32 v210, v216, v210
	v_add_f32_e32 v205, v205, v214
	;; [unrolled: 1-line block ×4, first 2 shown]
	v_mul_f32_e32 v216, 0xbf4c4adb, v212
	v_fmac_f32_e32 v218, 0x3f7ee86f, v176
	v_fmamk_f32 v213, v176, 0x3f4c4adb, v179
	v_fma_f32 v175, 0xbf1a4643, v181, -v215
	v_fmac_f32_e32 v179, 0xbf4c4adb, v176
	v_sub_f32_e32 v168, v168, v174
	v_fmamk_f32 v174, v214, 0xbf1a4643, v216
	v_mul_f32_e32 v176, 0xbf1a4643, v169
	v_add_f32_e32 v150, v175, v150
	v_add_f32_e32 v175, v179, v177
	v_mul_f32_e32 v179, 0x3f763a35, v212
	v_add_f32_e32 v174, v174, v186
	v_fmamk_f32 v177, v168, 0x3f4c4adb, v176
	v_fma_f32 v181, 0xbf1a4643, v214, -v216
	v_fmac_f32_e32 v176, 0xbf4c4adb, v168
	v_mul_f32_e32 v186, 0xbe8c1d8e, v169
	v_add_f32_e32 v180, v213, v180
	v_add_f32_e32 v177, v177, v185
	v_fmamk_f32 v185, v214, 0xbe8c1d8e, v179
	v_add_f32_e32 v181, v181, v183
	v_add_f32_e32 v176, v176, v178
	v_fmamk_f32 v178, v168, 0xbf763a35, v186
	v_mul_f32_e32 v183, 0xbeb8f4ab, v212
	v_fma_f32 v179, 0xbe8c1d8e, v214, -v179
	v_add_f32_e32 v184, v185, v184
	v_fmac_f32_e32 v186, 0x3f763a35, v168
	v_add_f32_e32 v178, v178, v192
	v_fmamk_f32 v185, v214, 0x3f6eb680, v183
	v_mul_f32_e32 v192, 0x3f6eb680, v169
	v_add_f32_e32 v179, v179, v193
	v_mul_f32_e32 v193, 0xbf06c442, v212
	v_add_f32_e32 v186, v186, v194
	v_add_f32_e32 v185, v185, v195
	v_fmamk_f32 v194, v168, 0x3eb8f4ab, v192
	v_fma_f32 v183, 0x3f6eb680, v214, -v183
	v_fmac_f32_e32 v192, 0xbeb8f4ab, v168
	v_fmamk_f32 v195, v214, 0xbf59a7d5, v193
	v_mul_f32_e32 v213, 0xbf59a7d5, v169
	v_add_f32_e32 v194, v194, v197
	v_add_f32_e32 v182, v183, v182
	;; [unrolled: 1-line block ×4, first 2 shown]
	v_fmamk_f32 v192, v168, 0x3f06c442, v213
	v_mul_f32_e32 v195, 0x3f7ee86f, v212
	v_fma_f32 v193, 0xbf59a7d5, v214, -v193
	v_fmac_f32_e32 v213, 0xbf06c442, v168
	v_mul_f32_e32 v197, 0x3dbcf732, v169
	v_add_f32_e32 v192, v192, v198
	v_fmamk_f32 v198, v214, 0x3dbcf732, v195
	v_add_f32_e32 v188, v193, v188
	v_add_f32_e32 v193, v213, v202
	v_fmamk_f32 v199, v168, 0xbf7ee86f, v197
	v_mul_f32_e32 v202, 0xbf2c7751, v212
	v_add_f32_e32 v189, v198, v189
	v_fma_f32 v195, 0x3dbcf732, v214, -v195
	v_fmac_f32_e32 v197, 0x3f7ee86f, v168
	v_add_f32_e32 v190, v199, v190
	v_fmamk_f32 v198, v214, 0x3f3d2fb0, v202
	v_mul_f32_e32 v199, 0x3f3d2fb0, v169
	v_add_f32_e32 v191, v195, v191
	v_add_f32_e32 v195, v197, v200
	v_mul_f32_e32 v197, 0xbe3c28d5, v212
	v_add_f32_e32 v198, v198, v201
	v_fmamk_f32 v200, v168, 0x3f2c7751, v199
	v_fma_f32 v201, 0x3f3d2fb0, v214, -v202
	v_mul_f32_e32 v213, 0xbf7ba420, v169
	v_fmamk_f32 v202, v214, 0xbf7ba420, v197
	v_fma_f32 v197, 0xbf7ba420, v214, -v197
	v_add_f32_e32 v200, v200, v204
	v_add_f32_e32 v201, v201, v203
	v_fmamk_f32 v203, v168, 0x3e3c28d5, v213
	v_mul_f32_e32 v204, 0x3f65296c, v212
	v_fmac_f32_e32 v213, 0xbe3c28d5, v168
	v_mul_f32_e32 v169, 0x3ee437d1, v169
	v_add_f32_e32 v197, v197, v207
	v_add_f32_e32 v151, v203, v151
	v_fmamk_f32 v203, v214, 0x3ee437d1, v204
	v_add_f32_e32 v207, v213, v210
	v_sub_f32_e32 v210, v171, v173
	v_add_f32_e32 v171, v173, v171
	v_fmac_f32_e32 v199, 0xbf2c7751, v168
	v_add_f32_e32 v202, v202, v206
	v_fmamk_f32 v206, v168, 0xbf65296c, v169
	v_add_f32_e32 v203, v203, v205
	v_add_f32_e32 v205, v172, v170
	v_mul_f32_e32 v173, 0xbf06c442, v210
	v_fma_f32 v204, 0x3ee437d1, v214, -v204
	v_fmac_f32_e32 v169, 0x3f65296c, v168
	v_sub_f32_e32 v168, v170, v172
	v_mul_f32_e32 v170, 0xbf59a7d5, v171
	v_fmamk_f32 v172, v205, 0xbf59a7d5, v173
	v_add_f32_e32 v150, v204, v150
	v_add_f32_e32 v169, v169, v175
	v_mul_f32_e32 v175, 0x3f65296c, v210
	v_fmamk_f32 v204, v168, 0x3f06c442, v170
	v_add_f32_e32 v172, v172, v174
	v_fma_f32 v173, 0xbf59a7d5, v205, -v173
	v_fmac_f32_e32 v170, 0xbf06c442, v168
	v_fmamk_f32 v174, v205, 0x3ee437d1, v175
	v_add_f32_e32 v177, v204, v177
	v_mul_f32_e32 v204, 0x3ee437d1, v171
	v_add_f32_e32 v173, v173, v181
	v_add_f32_e32 v170, v170, v176
	;; [unrolled: 1-line block ×3, first 2 shown]
	v_mul_f32_e32 v184, 0x3dbcf732, v171
	v_fmamk_f32 v181, v168, 0xbf65296c, v204
	v_mul_f32_e32 v176, 0xbf7ee86f, v210
	v_fma_f32 v175, 0x3ee437d1, v205, -v175
	v_fmac_f32_e32 v204, 0x3f65296c, v168
	v_add_f32_e32 v180, v206, v180
	v_add_f32_e32 v178, v181, v178
	v_fmamk_f32 v181, v168, 0x3f7ee86f, v184
	v_fmamk_f32 v206, v205, 0x3dbcf732, v176
	v_add_f32_e32 v175, v175, v179
	v_add_f32_e32 v179, v204, v186
	v_mul_f32_e32 v186, 0x3f4c4adb, v210
	v_fma_f32 v176, 0x3dbcf732, v205, -v176
	v_fmac_f32_e32 v184, 0xbf7ee86f, v168
	v_add_f32_e32 v181, v181, v194
	v_mul_f32_e32 v194, 0xbf1a4643, v171
	v_fmamk_f32 v204, v205, 0xbf1a4643, v186
	v_add_f32_e32 v176, v176, v182
	v_add_f32_e32 v182, v184, v183
	v_mul_f32_e32 v183, 0xbeb8f4ab, v210
	v_fmamk_f32 v184, v168, 0xbf4c4adb, v194
	v_add_f32_e32 v187, v204, v187
	v_fma_f32 v186, 0xbf1a4643, v205, -v186
	v_fmac_f32_e32 v194, 0x3f4c4adb, v168
	v_fmamk_f32 v204, v205, 0x3f6eb680, v183
	v_add_f32_e32 v184, v184, v192
	v_mul_f32_e32 v192, 0x3f6eb680, v171
	v_add_f32_e32 v186, v186, v188
	v_add_f32_e32 v188, v194, v193
	;; [unrolled: 1-line block ×3, first 2 shown]
	v_mul_f32_e32 v193, 0xbe3c28d5, v210
	v_fmamk_f32 v194, v168, 0x3eb8f4ab, v192
	v_fma_f32 v183, 0x3f6eb680, v205, -v183
	v_fmac_f32_e32 v192, 0xbeb8f4ab, v168
	v_mul_f32_e32 v204, 0xbf7ba420, v171
	v_add_f32_e32 v211, v218, v211
	v_add_f32_e32 v185, v206, v185
	v_fmamk_f32 v206, v205, 0xbf7ba420, v193
	v_add_f32_e32 v183, v183, v191
	v_add_f32_e32 v191, v192, v195
	v_fmamk_f32 v192, v168, 0x3e3c28d5, v204
	v_mul_f32_e32 v195, 0x3f2c7751, v210
	v_fma_f32 v193, 0xbf7ba420, v205, -v193
	v_add_f32_e32 v199, v199, v211
	v_add_f32_e32 v190, v194, v190
	;; [unrolled: 1-line block ×3, first 2 shown]
	v_fmac_f32_e32 v204, 0xbe3c28d5, v168
	v_add_f32_e32 v192, v192, v200
	v_mul_f32_e32 v198, 0x3f3d2fb0, v171
	v_fmamk_f32 v200, v205, 0x3f3d2fb0, v195
	v_add_f32_e32 v193, v193, v201
	v_mul_f32_e32 v201, 0xbf763a35, v210
	v_add_f32_e32 v199, v204, v199
	v_fmamk_f32 v204, v168, 0xbf2c7751, v198
	v_add_f32_e32 v200, v200, v202
	v_fma_f32 v195, 0x3f3d2fb0, v205, -v195
	v_fmac_f32_e32 v198, 0x3f2c7751, v168
	v_fmamk_f32 v202, v205, 0xbe8c1d8e, v201
	v_add_f32_e32 v204, v204, v151
	v_mul_f32_e32 v151, 0xbe8c1d8e, v171
	v_add_f32_e32 v195, v195, v197
	v_add_f32_e32 v197, v198, v207
	;; [unrolled: 1-line block ×3, first 2 shown]
	v_sub_f32_e32 v202, v165, v167
	v_add_f32_e32 v203, v167, v165
	v_fmamk_f32 v171, v168, 0x3f763a35, v151
	v_fma_f32 v201, 0xbe8c1d8e, v205, -v201
	v_add_f32_e32 v205, v166, v164
	v_mul_f32_e32 v165, 0xbe3c28d5, v202
	v_fmac_f32_e32 v151, 0xbf763a35, v168
	v_sub_f32_e32 v206, v164, v166
	v_mul_f32_e32 v166, 0xbf7ba420, v203
	v_mul_f32_e32 v167, 0x3eb8f4ab, v202
	v_fmamk_f32 v164, v205, 0xbf7ba420, v165
	v_add_f32_e32 v210, v151, v169
	v_mul_f32_e32 v169, 0x3f6eb680, v203
	v_fmamk_f32 v151, v206, 0x3e3c28d5, v166
	v_fmac_f32_e32 v166, 0xbe3c28d5, v206
	v_fmamk_f32 v168, v205, 0x3f6eb680, v167
	v_add_f32_e32 v207, v171, v180
	v_add_f32_e32 v201, v201, v150
	;; [unrolled: 1-line block ×3, first 2 shown]
	v_fma_f32 v164, 0xbf7ba420, v205, -v165
	v_add_f32_e32 v165, v166, v170
	v_mul_f32_e32 v171, 0xbf06c442, v202
	v_add_f32_e32 v166, v168, v174
	v_fmamk_f32 v168, v206, 0xbeb8f4ab, v169
	v_fma_f32 v170, 0x3f6eb680, v205, -v167
	v_add_f32_e32 v164, v164, v173
	v_fmac_f32_e32 v169, 0x3eb8f4ab, v206
	v_fmamk_f32 v172, v205, 0xbf59a7d5, v171
	v_mul_f32_e32 v173, 0xbf59a7d5, v203
	v_add_f32_e32 v167, v168, v178
	v_add_f32_e32 v168, v170, v175
	v_mul_f32_e32 v175, 0x3f2c7751, v202
	v_add_f32_e32 v151, v151, v177
	v_add_f32_e32 v169, v169, v179
	;; [unrolled: 1-line block ×3, first 2 shown]
	v_fmamk_f32 v172, v206, 0x3f06c442, v173
	v_fma_f32 v174, 0xbf59a7d5, v205, -v171
	v_mul_f32_e32 v177, 0x3f3d2fb0, v203
	v_fmamk_f32 v178, v205, 0x3f3d2fb0, v175
	v_mul_f32_e32 v179, 0xbf4c4adb, v202
	v_fmac_f32_e32 v173, 0xbf06c442, v206
	v_add_f32_e32 v171, v172, v181
	v_add_f32_e32 v172, v174, v176
	v_fmamk_f32 v176, v206, 0xbf2c7751, v177
	v_add_f32_e32 v174, v178, v187
	v_fma_f32 v178, 0x3f3d2fb0, v205, -v175
	v_fmamk_f32 v180, v205, 0xbf1a4643, v179
	v_mul_f32_e32 v181, 0xbf1a4643, v203
	v_add_f32_e32 v173, v173, v182
	v_add_f32_e32 v175, v176, v184
	;; [unrolled: 1-line block ×3, first 2 shown]
	v_mul_f32_e32 v184, 0x3f65296c, v202
	v_add_f32_e32 v178, v180, v189
	v_fmamk_f32 v180, v206, 0x3f4c4adb, v181
	v_fma_f32 v182, 0xbf1a4643, v205, -v179
	v_mul_f32_e32 v186, 0x3ee437d1, v203
	v_fmac_f32_e32 v177, 0x3f2c7751, v206
	v_fmac_f32_e32 v181, 0xbf4c4adb, v206
	v_fmamk_f32 v185, v205, 0x3ee437d1, v184
	v_add_f32_e32 v179, v180, v190
	v_add_f32_e32 v180, v182, v183
	v_fmamk_f32 v183, v206, 0xbf65296c, v186
	v_mul_f32_e32 v187, 0xbf763a35, v202
	v_fma_f32 v184, 0x3ee437d1, v205, -v184
	v_mul_f32_e32 v189, 0xbe8c1d8e, v203
	v_add_f32_e32 v177, v177, v188
	v_add_f32_e32 v181, v181, v191
	v_fmac_f32_e32 v186, 0x3f65296c, v206
	v_add_f32_e32 v183, v183, v192
	v_fmamk_f32 v188, v205, 0xbe8c1d8e, v187
	v_add_f32_e32 v184, v184, v193
	v_fmamk_f32 v190, v206, 0x3f763a35, v189
	v_fma_f32 v191, 0xbe8c1d8e, v205, -v187
	v_mul_f32_e32 v192, 0x3f7ee86f, v202
	v_mul_f32_e32 v193, 0x3dbcf732, v203
	v_add_f32_e32 v182, v185, v194
	v_add_f32_e32 v185, v186, v199
	;; [unrolled: 1-line block ×5, first 2 shown]
	v_fmamk_f32 v190, v205, 0x3dbcf732, v192
	v_fmamk_f32 v191, v206, 0xbf7ee86f, v193
	v_fma_f32 v192, 0x3dbcf732, v205, -v192
	v_fmac_f32_e32 v193, 0x3f7ee86f, v206
	v_add_f32_e32 v139, v139, v248
	v_fmac_f32_e32 v189, 0xbf763a35, v206
	v_add_f32_e32 v190, v190, v198
	v_add_f32_e32 v191, v191, v207
	;; [unrolled: 1-line block ×5, first 2 shown]
	s_barrier
	buffer_gl0_inv
	ds_write2_b64 v196, v[138:139], v[150:151] offset1:1
	ds_write2_b64 v196, v[166:167], v[170:171] offset0:2 offset1:3
	ds_write2_b64 v196, v[174:175], v[178:179] offset0:4 offset1:5
	;; [unrolled: 1-line block ×7, first 2 shown]
	ds_write_b64 v196, v[164:165] offset:128
	s_and_saveexec_b32 s0, vcc_lo
	s_cbranch_execz .LBB0_13
; %bb.12:
	v_add_f32_e32 v165, v141, v133
	v_add_f32_e32 v167, v140, v132
	;; [unrolled: 1-line block ×3, first 2 shown]
	v_sub_f32_e32 v177, v141, v246
	v_add_f32_e32 v150, v129, v147
	v_add_f32_e32 v172, v147, v165
	;; [unrolled: 1-line block ×3, first 2 shown]
	v_sub_f32_e32 v164, v140, v245
	v_sub_f32_e32 v139, v146, v128
	;; [unrolled: 1-line block ×3, first 2 shown]
	v_add_f32_e32 v173, v149, v172
	v_add_f32_e32 v176, v148, v167
	;; [unrolled: 1-line block ×7, first 2 shown]
	v_sub_f32_e32 v173, v147, v129
	v_add_f32_e32 v146, v142, v148
	v_sub_f32_e32 v148, v161, v131
	v_add_f32_e32 v141, v163, v141
	v_add_f32_e32 v147, v162, v176
	v_sub_f32_e32 v166, v160, v130
	v_add_f32_e32 v171, v159, v163
	v_add_f32_e32 v172, v157, v145
	;; [unrolled: 1-line block ×5, first 2 shown]
	v_sub_f32_e32 v160, v163, v159
	v_sub_f32_e32 v167, v152, v154
	v_add_f32_e32 v163, v153, v161
	v_add_f32_e32 v176, v152, v176
	v_sub_f32_e32 v161, v145, v157
	v_sub_f32_e32 v168, v162, v158
	v_add_f32_e32 v141, v158, v162
	v_add_f32_e32 v145, v135, v163
	;; [unrolled: 1-line block ×4, first 2 shown]
	v_sub_f32_e32 v153, v153, v155
	v_mul_f32_e32 v174, 0xbf06c442, v164
	v_add_f32_e32 v180, v137, v145
	v_add_f32_e32 v163, v136, v163
	;; [unrolled: 1-line block ×3, first 2 shown]
	v_mul_f32_e32 v176, 0xbe3c28d5, v164
	v_fmamk_f32 v175, v169, 0xbf59a7d5, v174
	v_add_f32_e32 v155, v155, v180
	v_add_f32_e32 v154, v154, v163
	v_sub_f32_e32 v165, v144, v156
	v_add_f32_e32 v144, v156, v144
	v_mul_f32_e32 v152, 0xbe3c28d5, v177
	v_add_f32_e32 v155, v157, v155
	v_add_f32_e32 v154, v156, v154
	v_fma_f32 v157, 0xbf59a7d5, v169, -v174
	v_mul_f32_e32 v174, 0xbf4c4adb, v177
	v_fmamk_f32 v163, v169, 0xbf7ba420, v176
	v_add_f32_e32 v155, v159, v155
	v_add_f32_e32 v154, v158, v154
	v_fma_f32 v176, 0xbf7ba420, v169, -v176
	v_mul_f32_e32 v156, 0xbf1a4643, v169
	v_mul_f32_e32 v183, 0xbe8c1d8e, v169
	v_fmamk_f32 v158, v178, 0xbf1a4643, v174
	v_add_f32_e32 v130, v130, v154
	v_mul_f32_e32 v185, 0x3dbcf732, v169
	v_add_f32_e32 v131, v131, v155
	v_mul_f32_e32 v186, 0x3ee437d1, v169
	v_mul_f32_e32 v188, 0xbf65296c, v177
	v_add_f32_e32 v130, v142, v130
	v_mul_f32_e32 v189, 0x3f3d2fb0, v169
	v_mul_f32_e32 v169, 0x3f6eb680, v169
	v_fma_f32 v174, 0xbf1a4643, v178, -v174
	v_fma_f32 v180, 0xbf7ba420, v178, -v152
	v_fmac_f32_e32 v152, 0xbf7ba420, v178
	v_mul_f32_e32 v155, 0xbf7ee86f, v177
	v_add_f32_e32 v131, v143, v131
	v_add_f32_e32 v128, v128, v130
	v_fmamk_f32 v130, v178, 0x3ee437d1, v188
	v_fmamk_f32 v191, v164, 0x3eb8f4ab, v169
	v_fmac_f32_e32 v169, 0xbeb8f4ab, v164
	v_add_f32_e32 v202, v132, v174
	v_mul_f32_e32 v174, 0x3f65296c, v139
	v_add_f32_e32 v151, v143, v149
	v_sub_f32_e32 v149, v149, v143
	v_mul_f32_e32 v179, 0xbf06c442, v177
	v_mul_f32_e32 v159, 0xbf763a35, v177
	v_fmamk_f32 v142, v178, 0x3dbcf732, v155
	v_fmamk_f32 v143, v164, 0x3f65296c, v186
	v_add_f32_e32 v129, v129, v131
	v_fmamk_f32 v131, v164, 0x3f2c7751, v189
	v_mul_f32_e32 v190, 0xbf2c7751, v177
	v_fmac_f32_e32 v186, 0xbf65296c, v164
	v_mul_f32_e32 v177, 0xbeb8f4ab, v177
	v_add_f32_e32 v175, v133, v175
	v_add_f32_e32 v193, v132, v152
	v_add_f32_e32 v199, v132, v130
	v_add_f32_e32 v152, v133, v169
	v_mul_f32_e32 v169, 0xbf7ee86f, v138
	v_fmamk_f32 v130, v150, 0x3ee437d1, v174
	v_fma_f32 v181, 0xbf59a7d5, v178, -v179
	v_fmac_f32_e32 v179, 0xbf59a7d5, v178
	v_fmamk_f32 v182, v164, 0x3f4c4adb, v156
	v_fmamk_f32 v184, v164, 0x3f763a35, v183
	;; [unrolled: 1-line block ×4, first 2 shown]
	v_fmac_f32_e32 v156, 0xbf4c4adb, v164
	v_fmac_f32_e32 v183, 0xbf763a35, v164
	;; [unrolled: 1-line block ×4, first 2 shown]
	v_fmamk_f32 v164, v178, 0x3f3d2fb0, v190
	v_fma_f32 v159, 0xbe8c1d8e, v178, -v159
	v_fma_f32 v155, 0x3dbcf732, v178, -v155
	;; [unrolled: 1-line block ×4, first 2 shown]
	v_fmamk_f32 v192, v178, 0x3f6eb680, v177
	v_fma_f32 v177, 0x3f6eb680, v178, -v177
	v_add_f32_e32 v194, v133, v157
	v_add_f32_e32 v197, v132, v142
	;; [unrolled: 1-line block ×4, first 2 shown]
	v_sub_f32_e32 v142, v134, v136
	v_add_f32_e32 v186, v137, v135
	v_add_f32_e32 v134, v136, v134
	v_mul_f32_e32 v136, 0x3f4c4adb, v166
	v_fmamk_f32 v131, v151, 0x3dbcf732, v169
	v_add_f32_e32 v130, v130, v175
	v_sub_f32_e32 v137, v135, v137
	v_mul_f32_e32 v135, 0x3f65296c, v173
	v_add_f32_e32 v178, v132, v181
	v_add_f32_e32 v181, v133, v163
	;; [unrolled: 1-line block ×15, first 2 shown]
	v_fmamk_f32 v132, v170, 0xbf1a4643, v136
	v_add_f32_e32 v130, v131, v130
	v_fma_f32 v131, 0x3ee437d1, v140, -v135
	v_mul_f32_e32 v177, 0xbf7ee86f, v149
	v_mul_f32_e32 v175, 0xbeb8f4ab, v168
	;; [unrolled: 1-line block ×3, first 2 shown]
	v_add_f32_e32 v130, v132, v130
	v_add_f32_e32 v131, v131, v178
	v_fma_f32 v132, 0x3dbcf732, v146, -v177
	v_mul_f32_e32 v178, 0x3f4c4adb, v148
	v_add_f32_e32 v176, v133, v176
	v_add_f32_e32 v182, v133, v182
	;; [unrolled: 1-line block ×4, first 2 shown]
	v_fma_f32 v132, 0xbf1a4643, v147, -v178
	v_add_f32_e32 v187, v133, v187
	v_add_f32_e32 v191, v133, v191
	;; [unrolled: 1-line block ×5, first 2 shown]
	v_fmamk_f32 v133, v171, 0x3f6eb680, v175
	v_mul_f32_e32 v183, 0xbe3c28d5, v165
	v_add_f32_e32 v131, v132, v131
	v_fma_f32 v132, 0x3f6eb680, v141, -v188
	v_mul_f32_e32 v189, 0xbe3c28d5, v161
	v_add_f32_e32 v130, v133, v130
	v_fmamk_f32 v133, v172, 0xbf7ba420, v183
	v_mul_f32_e32 v185, 0x3f2c7751, v167
	v_add_f32_e32 v131, v132, v131
	v_fma_f32 v132, 0xbf7ba420, v144, -v189
	v_mul_f32_e32 v190, 0x3f2c7751, v153
	v_add_f32_e32 v130, v133, v130
	;; [unrolled: 6-line block ×3, first 2 shown]
	v_mul_f32_e32 v206, 0x3eb8f4ab, v139
	v_mul_f32_e32 v207, 0x3f2c7751, v166
	v_add_f32_e32 v132, v132, v131
	v_fmamk_f32 v131, v186, 0xbe8c1d8e, v204
	v_mul_f32_e32 v210, 0xbf4c4adb, v168
	v_mul_f32_e32 v211, 0x3eb8f4ab, v173
	v_fma_f32 v174, 0x3ee437d1, v150, -v174
	v_fma_f32 v169, 0x3dbcf732, v151, -v169
	v_add_f32_e32 v131, v131, v130
	v_fma_f32 v130, 0xbe8c1d8e, v134, -v205
	v_fmac_f32_e32 v135, 0x3ee437d1, v140
	v_add_f32_e32 v174, v174, v194
	v_mul_f32_e32 v219, 0x3f7ee86f, v142
	v_fma_f32 v136, 0xbf1a4643, v170, -v136
	v_add_f32_e32 v130, v130, v132
	v_fmamk_f32 v132, v150, 0x3f6eb680, v206
	v_fma_f32 v206, 0x3f6eb680, v150, -v206
	v_add_f32_e32 v169, v169, v174
	v_add_f32_e32 v135, v135, v179
	v_fmac_f32_e32 v177, 0x3dbcf732, v146
	v_add_f32_e32 v132, v132, v181
	v_mul_f32_e32 v181, 0xbf06c442, v138
	v_add_f32_e32 v176, v206, v176
	v_fma_f32 v174, 0x3dbcf732, v186, -v219
	v_add_f32_e32 v169, v136, v169
	v_fma_f32 v175, 0x3f6eb680, v171, -v175
	v_fmamk_f32 v133, v151, 0xbf59a7d5, v181
	v_fma_f32 v181, 0xbf59a7d5, v151, -v181
	v_add_f32_e32 v135, v177, v135
	v_fmac_f32_e32 v178, 0xbf1a4643, v147
	v_add_f32_e32 v169, v175, v169
	v_add_f32_e32 v132, v133, v132
	v_fmamk_f32 v133, v170, 0x3f3d2fb0, v207
	v_add_f32_e32 v176, v181, v176
	v_add_f32_e32 v175, v178, v135
	v_fmac_f32_e32 v188, 0x3f6eb680, v141
	v_mul_f32_e32 v194, 0x3f6eb680, v151
	v_add_f32_e32 v132, v133, v132
	v_fmamk_f32 v133, v171, 0xbf1a4643, v210
	v_fmac_f32_e32 v189, 0xbf7ba420, v144
	v_fma_f32 v177, 0x3f3d2fb0, v162, -v185
	v_fmac_f32_e32 v190, 0x3f3d2fb0, v145
	v_fmac_f32_e32 v205, 0xbe8c1d8e, v134
	v_add_f32_e32 v132, v133, v132
	v_fma_f32 v133, 0x3f6eb680, v140, -v211
	v_fmac_f32_e32 v211, 0x3f6eb680, v140
	v_mul_f32_e32 v206, 0xbf7ba420, v162
	v_mul_f32_e32 v220, 0x3f7ee86f, v137
	;; [unrolled: 1-line block ×3, first 2 shown]
	v_add_f32_e32 v133, v133, v180
	v_mul_f32_e32 v180, 0x3f65296c, v165
	v_add_f32_e32 v181, v211, v193
	v_fma_f32 v193, 0x3f3d2fb0, v170, -v207
	v_mul_f32_e32 v207, 0x3f7ee86f, v160
	v_mul_f32_e32 v211, 0xbe3c28d5, v153
	v_fmamk_f32 v212, v172, 0x3ee437d1, v180
	v_fma_f32 v180, 0x3ee437d1, v172, -v180
	v_add_f32_e32 v176, v193, v176
	v_fma_f32 v193, 0xbf1a4643, v171, -v210
	v_mul_f32_e32 v210, 0xbf2c7751, v161
	v_add_f32_e32 v132, v212, v132
	v_mul_f32_e32 v212, 0xbf06c442, v149
	v_mul_f32_e32 v222, 0x3f7ee86f, v161
	v_add_f32_e32 v176, v193, v176
	v_mul_f32_e32 v193, 0xbe8c1d8e, v150
	v_mul_f32_e32 v223, 0xbeb8f4ab, v153
	v_fma_f32 v213, 0xbf59a7d5, v146, -v212
	v_fmac_f32_e32 v212, 0xbf59a7d5, v146
	v_add_f32_e32 v176, v180, v176
	v_mul_f32_e32 v224, 0xbf1a4643, v186
	v_mul_f32_e32 v225, 0xbf4c4adb, v137
	v_add_f32_e32 v133, v213, v133
	v_mul_f32_e32 v213, 0xbf763a35, v167
	v_add_f32_e32 v181, v212, v181
	v_mul_f32_e32 v212, 0x3ee437d1, v186
	v_mul_f32_e32 v226, 0xbf7ba420, v150
	;; [unrolled: 1-line block ×3, first 2 shown]
	v_fmamk_f32 v214, v162, 0xbe8c1d8e, v213
	v_mul_f32_e32 v228, 0x3ee437d1, v171
	v_mul_f32_e32 v229, 0xbe3c28d5, v173
	;; [unrolled: 1-line block ×3, first 2 shown]
	v_add_f32_e32 v128, v245, v128
	v_add_f32_e32 v132, v214, v132
	v_mul_f32_e32 v214, 0x3f2c7751, v148
	v_mul_f32_e32 v245, 0xbf1a4643, v162
	v_add_f32_e32 v129, v246, v129
	v_mul_f32_e32 v246, 0x3eb8f4ab, v148
	v_mul_f32_e32 v247, 0xbf65296c, v160
	v_fma_f32 v215, 0x3f3d2fb0, v147, -v214
	v_fmac_f32_e32 v214, 0x3f3d2fb0, v147
	v_mul_f32_e32 v248, 0xbf06c442, v161
	v_mul_f32_e32 v250, 0x3f4c4adb, v153
	;; [unrolled: 1-line block ×3, first 2 shown]
	v_add_f32_e32 v133, v215, v133
	v_mul_f32_e32 v215, 0xbf4c4adb, v160
	v_add_f32_e32 v181, v214, v181
	v_mul_f32_e32 v214, 0x3f3d2fb0, v151
	v_mul_f32_e32 v253, 0x3f2c7751, v137
	;; [unrolled: 1-line block ×3, first 2 shown]
	v_fma_f32 v216, 0xbf1a4643, v141, -v215
	v_fmac_f32_e32 v215, 0xbf1a4643, v141
	v_fmamk_f32 v179, v138, 0xbf2c7751, v214
	v_mul_f32_e32 v255, 0xbe8c1d8e, v170
	v_mov_b32_e32 v14, v231
	v_add_f32_e32 v133, v216, v133
	v_add_f32_e32 v180, v215, v181
	v_fma_f32 v181, 0xbe8c1d8e, v162, -v213
	v_mul_f32_e32 v216, 0x3f65296c, v161
	v_mul_f32_e32 v213, 0xbf59a7d5, v150
	;; [unrolled: 1-line block ×3, first 2 shown]
	v_mov_b32_e32 v15, v232
	v_add_f32_e32 v176, v181, v176
	v_fma_f32 v217, 0x3ee437d1, v144, -v216
	v_fmac_f32_e32 v216, 0x3ee437d1, v144
	v_mul_f32_e32 v231, 0x3f3d2fb0, v171
	v_mul_f32_e32 v232, 0xbf4c4adb, v173
	v_add_f32_e32 v136, v174, v176
	v_fma_f32 v174, 0xbf7ba420, v172, -v183
	v_fmamk_f32 v176, v139, 0xbf763a35, v193
	v_add_f32_e32 v133, v217, v133
	v_mul_f32_e32 v217, 0xbf763a35, v153
	v_add_f32_e32 v180, v216, v180
	v_add_f32_e32 v169, v174, v169
	;; [unrolled: 1-line block ×4, first 2 shown]
	v_fmamk_f32 v176, v138, 0x3eb8f4ab, v194
	v_mul_f32_e32 v188, 0xbf59a7d5, v170
	v_add_f32_e32 v169, v177, v169
	v_add_f32_e32 v174, v189, v174
	v_mul_f32_e32 v189, 0x3f763a35, v173
	v_add_f32_e32 v175, v176, v175
	v_fmamk_f32 v176, v166, 0x3f06c442, v188
	v_fma_f32 v177, 0xbe8c1d8e, v186, -v204
	v_add_f32_e32 v174, v190, v174
	v_mul_f32_e32 v190, 0x3dbcf732, v171
	v_fmamk_f32 v178, v140, 0xbe8c1d8e, v189
	v_mul_f32_e32 v204, 0xbeb8f4ab, v149
	v_add_f32_e32 v176, v176, v175
	v_add_f32_e32 v175, v177, v169
	v_fmamk_f32 v169, v168, 0xbf7ee86f, v190
	v_add_f32_e32 v177, v178, v195
	v_mul_f32_e32 v195, 0x3f3d2fb0, v172
	v_fmamk_f32 v178, v146, 0x3f6eb680, v204
	v_add_f32_e32 v174, v205, v174
	v_mul_f32_e32 v205, 0xbf06c442, v148
	v_add_f32_e32 v169, v169, v176
	v_fmamk_f32 v176, v165, 0x3f2c7751, v195
	v_add_f32_e32 v177, v178, v177
	v_fma_f32 v218, 0xbe8c1d8e, v145, -v217
	v_fmamk_f32 v178, v147, 0xbf59a7d5, v205
	v_fmac_f32_e32 v217, 0xbe8c1d8e, v145
	v_add_f32_e32 v169, v176, v169
	v_fmamk_f32 v176, v167, 0x3e3c28d5, v206
	v_mul_f32_e32 v216, 0xbf7ba420, v171
	v_add_f32_e32 v177, v178, v177
	v_fmamk_f32 v178, v141, 0x3dbcf732, v207
	v_add_f32_e32 v180, v217, v180
	v_add_f32_e32 v169, v176, v169
	v_mul_f32_e32 v217, 0x3f06c442, v173
	v_add_f32_e32 v218, v218, v133
	v_add_f32_e32 v176, v178, v177
	v_fmamk_f32 v177, v144, 0x3f3d2fb0, v210
	v_fmamk_f32 v133, v186, 0x3dbcf732, v219
	v_mul_f32_e32 v219, 0x3f6eb680, v162
	v_mov_b32_e32 v20, v233
	v_mov_b32_e32 v21, v234
	v_add_f32_e32 v176, v177, v176
	v_fmamk_f32 v177, v145, 0xbf7ba420, v211
	v_add_f32_e32 v133, v133, v132
	v_fma_f32 v132, 0x3dbcf732, v134, -v220
	v_fmac_f32_e32 v220, 0x3dbcf732, v134
	v_mul_f32_e32 v233, 0x3e3c28d5, v149
	v_add_f32_e32 v176, v177, v176
	v_fmamk_f32 v177, v142, 0xbf65296c, v212
	v_add_f32_e32 v132, v132, v218
	v_add_f32_e32 v135, v220, v180
	v_mul_f32_e32 v218, 0x3f2c7751, v149
	v_mul_f32_e32 v220, 0xbf65296c, v148
	v_add_f32_e32 v177, v177, v169
	v_mul_f32_e32 v169, 0x3f65296c, v137
	v_mul_f32_e32 v234, 0x3dbcf732, v162
	v_mov_b32_e32 v22, v235
	v_mov_b32_e32 v23, v236
	v_mul_f32_e32 v235, 0x3f763a35, v148
	v_fmamk_f32 v178, v134, 0x3ee437d1, v169
	v_mul_f32_e32 v236, 0x3f2c7751, v160
	v_mul_f32_e32 v24, 0xbeb8f4ab, v161
	;; [unrolled: 1-line block ×3, first 2 shown]
	v_mov_b32_e32 v26, v239
	v_add_f32_e32 v176, v178, v176
	v_fmamk_f32 v178, v139, 0xbf06c442, v213
	v_mov_b32_e32 v27, v240
	v_mul_f32_e32 v239, 0xbf59a7d5, v186
	v_mul_f32_e32 v240, 0xbf06c442, v137
	v_mov_b32_e32 v36, v241
	v_add_f32_e32 v178, v178, v184
	v_mov_b32_e32 v37, v242
	v_mul_f32_e32 v241, 0x3dbcf732, v150
	v_mul_f32_e32 v242, 0xbf7ba420, v170
	v_mov_b32_e32 v38, v243
	v_add_f32_e32 v178, v179, v178
	v_fmamk_f32 v179, v166, 0x3f65296c, v215
	v_mul_f32_e32 v243, 0xbf59a7d5, v171
	v_mov_b32_e32 v39, v244
	v_mul_f32_e32 v244, 0xbf7ee86f, v173
	v_mov_b32_e32 v44, v251
	v_add_f32_e32 v178, v179, v178
	v_fmamk_f32 v179, v168, 0x3e3c28d5, v216
	v_mul_f32_e32 v251, 0xbe8c1d8e, v172
	v_mov_b32_e32 v12, v208
	v_mov_b32_e32 v13, v209
	v_mul_f32_e32 v208, 0xbf4c4adb, v149
	v_add_f32_e32 v178, v179, v178
	v_fmamk_f32 v179, v140, 0xbf59a7d5, v217
	v_mul_f32_e32 v0, 0xbe3c28d5, v148
	v_mul_f32_e32 v2, 0x3f06c442, v160
	;; [unrolled: 1-line block ×4, first 2 shown]
	v_add_f32_e32 v179, v179, v196
	v_mul_f32_e32 v196, 0x3dbcf732, v172
	v_fmamk_f32 v1, v147, 0xbf7ba420, v0
	v_fmamk_f32 v3, v141, 0xbf59a7d5, v2
	;; [unrolled: 1-line block ×3, first 2 shown]
	v_mul_f32_e32 v7, 0x3ee437d1, v151
	v_fmamk_f32 v180, v165, 0xbf7ee86f, v196
	v_mul_f32_e32 v170, 0x3dbcf732, v170
	v_mul_f32_e32 v171, 0xbe8c1d8e, v171
	v_mul_f32_e32 v173, 0xbf2c7751, v173
	v_mul_f32_e32 v8, 0xbf763a35, v160
	v_add_f32_e32 v178, v180, v178
	v_fmamk_f32 v180, v146, 0x3f3d2fb0, v218
	v_mul_f32_e32 v10, 0xbf4c4adb, v161
	v_mul_f32_e32 v162, 0xbf59a7d5, v162
	v_fmamk_f32 v9, v141, 0xbe8c1d8e, v8
	v_fmac_f32_e32 v193, 0x3f763a35, v139
	v_add_f32_e32 v179, v180, v179
	v_fmamk_f32 v180, v167, 0x3eb8f4ab, v219
	v_fmamk_f32 v11, v144, 0xbf1a4643, v10
	v_fmac_f32_e32 v194, 0xbeb8f4ab, v138
	v_fmac_f32_e32 v188, 0xbf06c442, v166
	;; [unrolled: 1-line block ×3, first 2 shown]
	v_add_f32_e32 v178, v180, v178
	v_fmamk_f32 v180, v147, 0x3ee437d1, v220
	v_fmac_f32_e32 v195, 0xbf2c7751, v165
	v_fmac_f32_e32 v206, 0xbe3c28d5, v167
	v_fma_f32 v160, 0x3f3d2fb0, v146, -v218
	v_fmac_f32_e32 v212, 0x3f65296c, v142
	v_add_f32_e32 v179, v180, v179
	v_fmamk_f32 v180, v141, 0xbf7ba420, v221
	v_fmac_f32_e32 v213, 0x3f06c442, v139
	v_fmac_f32_e32 v214, 0x3f2c7751, v138
	;; [unrolled: 1-line block ×4, first 2 shown]
	v_add_f32_e32 v179, v180, v179
	v_fmamk_f32 v180, v144, 0x3dbcf732, v222
	v_fmac_f32_e32 v196, 0x3f7ee86f, v165
	v_fmac_f32_e32 v219, 0xbeb8f4ab, v167
	v_fma_f32 v0, 0xbf7ba420, v147, -v0
	v_fma_f32 v2, 0xbf59a7d5, v141, -v2
	v_add_f32_e32 v179, v180, v179
	v_fmamk_f32 v180, v145, 0x3f6eb680, v223
	v_fmac_f32_e32 v4, 0x3eb8f4ab, v142
	v_add_f32_e32 v180, v180, v179
	v_fmamk_f32 v179, v142, 0x3f4c4adb, v224
	v_fmac_f32_e32 v224, 0xbf4c4adb, v142
	v_add_f32_e32 v179, v179, v178
	v_fmamk_f32 v178, v134, 0xbf1a4643, v225
	v_add_f32_e32 v178, v178, v180
	v_fmamk_f32 v180, v139, 0x3e3c28d5, v226
	v_fmac_f32_e32 v226, 0xbe3c28d5, v139
	v_add_f32_e32 v180, v180, v187
	v_mul_f32_e32 v187, 0xbe8c1d8e, v151
	v_fmamk_f32 v181, v138, 0xbf763a35, v187
	v_fmac_f32_e32 v187, 0x3f763a35, v138
	v_add_f32_e32 v180, v181, v180
	v_fmamk_f32 v181, v166, 0xbeb8f4ab, v227
	v_fmac_f32_e32 v227, 0x3eb8f4ab, v166
	v_add_f32_e32 v180, v181, v180
	;; [unrolled: 3-line block ×3, first 2 shown]
	v_fmamk_f32 v181, v140, 0xbf7ba420, v229
	v_add_f32_e32 v181, v181, v197
	v_mul_f32_e32 v197, 0xbf59a7d5, v172
	v_fmamk_f32 v182, v165, 0x3f06c442, v197
	v_fmac_f32_e32 v197, 0xbf06c442, v165
	v_add_f32_e32 v180, v182, v180
	v_fmamk_f32 v182, v146, 0xbe8c1d8e, v230
	v_add_f32_e32 v181, v182, v181
	v_fmamk_f32 v182, v167, 0xbf4c4adb, v245
	v_fmac_f32_e32 v245, 0x3f4c4adb, v167
	v_add_f32_e32 v180, v182, v180
	v_fmamk_f32 v182, v147, 0x3f6eb680, v246
	v_add_f32_e32 v181, v182, v181
	v_fmamk_f32 v182, v141, 0x3ee437d1, v247
	;; [unrolled: 2-line block ×5, first 2 shown]
	v_fmac_f32_e32 v252, 0x3f2c7751, v142
	v_add_f32_e32 v181, v181, v180
	v_fmamk_f32 v180, v134, 0x3f3d2fb0, v253
	v_add_f32_e32 v180, v180, v182
	v_fmamk_f32 v182, v139, 0x3f4c4adb, v254
	v_fmac_f32_e32 v254, 0xbf4c4adb, v139
	v_add_f32_e32 v182, v182, v198
	v_mul_f32_e32 v198, 0xbf7ba420, v151
	v_fmamk_f32 v183, v138, 0xbe3c28d5, v198
	v_fmac_f32_e32 v198, 0x3e3c28d5, v138
	v_add_f32_e32 v182, v183, v182
	v_fmamk_f32 v183, v166, 0xbf763a35, v255
	v_fmac_f32_e32 v255, 0x3f763a35, v166
	v_add_f32_e32 v182, v183, v182
	;; [unrolled: 3-line block ×3, first 2 shown]
	v_fmamk_f32 v183, v140, 0xbf1a4643, v232
	v_add_f32_e32 v183, v183, v199
	v_mul_f32_e32 v199, 0x3f6eb680, v172
	v_mul_f32_e32 v172, 0xbf1a4643, v172
	v_fmamk_f32 v184, v165, 0x3eb8f4ab, v199
	v_fmac_f32_e32 v199, 0xbeb8f4ab, v165
	v_add_f32_e32 v182, v184, v182
	v_fmamk_f32 v184, v146, 0xbf7ba420, v233
	v_add_f32_e32 v183, v184, v183
	v_fmamk_f32 v184, v167, 0x3f7ee86f, v234
	v_fmac_f32_e32 v234, 0xbf7ee86f, v167
	v_add_f32_e32 v182, v184, v182
	v_fmamk_f32 v184, v147, 0xbe8c1d8e, v235
	v_add_f32_e32 v183, v184, v183
	v_fmamk_f32 v184, v141, 0x3f3d2fb0, v236
	;; [unrolled: 2-line block ×5, first 2 shown]
	v_fmac_f32_e32 v239, 0xbf06c442, v142
	v_add_f32_e32 v183, v183, v182
	v_fmamk_f32 v182, v134, 0xbf59a7d5, v240
	v_add_f32_e32 v182, v182, v184
	v_fmamk_f32 v184, v139, 0x3f7ee86f, v241
	v_fmac_f32_e32 v241, 0xbf7ee86f, v139
	v_add_f32_e32 v184, v184, v200
	v_mul_f32_e32 v200, 0xbf1a4643, v151
	v_fmamk_f32 v151, v167, 0x3f06c442, v162
	v_add_f32_e32 v155, v241, v155
	v_fmac_f32_e32 v162, 0xbf06c442, v167
	v_fmamk_f32 v185, v138, 0x3f4c4adb, v200
	v_fmac_f32_e32 v200, 0xbf4c4adb, v138
	v_add_f32_e32 v184, v185, v184
	v_fmamk_f32 v185, v166, 0x3e3c28d5, v242
	v_add_f32_e32 v155, v200, v155
	v_fmac_f32_e32 v242, 0xbe3c28d5, v166
	v_add_f32_e32 v184, v185, v184
	v_fmamk_f32 v185, v168, 0xbf06c442, v243
	v_add_f32_e32 v155, v242, v155
	v_fmac_f32_e32 v243, 0x3f06c442, v168
	v_mov_b32_e32 v242, v37
	v_mov_b32_e32 v241, v36
	v_add_f32_e32 v184, v185, v184
	v_fmamk_f32 v185, v140, 0x3dbcf732, v244
	v_add_f32_e32 v164, v185, v164
	v_fmamk_f32 v185, v165, 0xbf763a35, v251
	v_fmac_f32_e32 v251, 0x3f763a35, v165
	v_add_f32_e32 v184, v185, v184
	v_fmamk_f32 v185, v146, 0xbf1a4643, v208
	v_add_f32_e32 v164, v185, v164
	v_fmamk_f32 v185, v167, 0xbf65296c, v209
	v_fmac_f32_e32 v209, 0x3f65296c, v167
	v_add_f32_e32 v1, v1, v164
	v_add_f32_e32 v184, v185, v184
	;; [unrolled: 1-line block ×3, first 2 shown]
	v_mul_f32_e32 v3, 0x3f763a35, v161
	v_fmamk_f32 v164, v144, 0xbe8c1d8e, v3
	v_add_f32_e32 v1, v164, v1
	v_mul_f32_e32 v164, 0x3f65296c, v153
	v_fmamk_f32 v185, v145, 0x3ee437d1, v164
	v_add_f32_e32 v1, v185, v1
	v_add_f32_e32 v185, v5, v184
	v_mul_f32_e32 v5, 0x3eb8f4ab, v137
	v_mul_f32_e32 v137, 0xbe3c28d5, v137
	v_fmamk_f32 v6, v134, 0x3f6eb680, v5
	v_fma_f32 v5, 0x3f6eb680, v134, -v5
	v_add_f32_e32 v184, v6, v1
	v_mul_f32_e32 v1, 0x3f3d2fb0, v150
	v_fmamk_f32 v150, v138, 0x3f65296c, v7
	v_fmac_f32_e32 v7, 0xbf65296c, v138
	v_fmamk_f32 v6, v139, 0x3f2c7751, v1
	v_fmac_f32_e32 v1, 0xbf2c7751, v139
	v_add_f32_e32 v6, v6, v191
	v_mul_f32_e32 v191, 0xbf65296c, v149
	v_add_f32_e32 v1, v1, v152
	v_add_f32_e32 v6, v150, v6
	v_fmamk_f32 v150, v166, 0x3f7ee86f, v170
	v_fmamk_f32 v149, v146, 0x3ee437d1, v191
	v_fma_f32 v138, 0x3ee437d1, v146, -v191
	v_add_f32_e32 v1, v7, v1
	v_fmac_f32_e32 v170, 0xbf7ee86f, v166
	v_add_f32_e32 v6, v150, v6
	v_fmamk_f32 v150, v168, 0x3f763a35, v171
	v_fmac_f32_e32 v171, 0xbf763a35, v168
	v_add_f32_e32 v1, v170, v1
	v_add_f32_e32 v6, v150, v6
	v_fmamk_f32 v150, v165, 0x3f4c4adb, v172
	v_fmac_f32_e32 v172, 0xbf4c4adb, v165
	v_add_f32_e32 v1, v171, v1
	v_add_f32_e32 v6, v150, v6
	v_fmamk_f32 v150, v140, 0x3f3d2fb0, v173
	v_add_f32_e32 v1, v172, v1
	v_add_f32_e32 v6, v151, v6
	;; [unrolled: 1-line block ×3, first 2 shown]
	v_mul_f32_e32 v192, 0xbf7ee86f, v148
	v_add_f32_e32 v1, v162, v1
	v_add_f32_e32 v149, v149, v150
	v_fmamk_f32 v148, v147, 0x3dbcf732, v192
	v_fma_f32 v150, 0x3f6eb680, v146, -v204
	v_add_f32_e32 v148, v148, v149
	v_add_f32_e32 v9, v9, v148
	;; [unrolled: 1-line block ×3, first 2 shown]
	v_mul_f32_e32 v11, 0xbf06c442, v153
	v_mul_f32_e32 v153, 0xbf7ba420, v186
	v_fmamk_f32 v148, v145, 0xbf59a7d5, v11
	v_add_f32_e32 v9, v148, v9
	v_fmamk_f32 v148, v142, 0x3e3c28d5, v153
	v_fmac_f32_e32 v153, 0xbe3c28d5, v142
	v_add_f32_e32 v149, v148, v6
	v_fmamk_f32 v6, v134, 0xbf7ba420, v137
	v_add_f32_e32 v148, v6, v9
	v_fma_f32 v9, 0xbe8c1d8e, v140, -v189
	v_add_f32_e32 v6, v193, v201
	v_add_f32_e32 v9, v9, v202
	;; [unrolled: 1-line block ×4, first 2 shown]
	v_fma_f32 v150, 0xbf59a7d5, v147, -v205
	v_add_f32_e32 v6, v188, v6
	v_add_f32_e32 v9, v150, v9
	v_fma_f32 v150, 0x3dbcf732, v141, -v207
	v_add_f32_e32 v6, v190, v6
	v_add_f32_e32 v9, v150, v9
	;; [unrolled: 3-line block ×5, first 2 shown]
	v_add_f32_e32 v150, v150, v9
	v_fma_f32 v9, 0xbf59a7d5, v140, -v217
	v_add_f32_e32 v6, v214, v6
	v_add_f32_e32 v9, v9, v163
	;; [unrolled: 1-line block ×3, first 2 shown]
	v_fma_f32 v163, 0xbf59a7d5, v134, -v240
	v_add_f32_e32 v9, v160, v9
	v_fma_f32 v160, 0x3ee437d1, v147, -v220
	v_add_f32_e32 v6, v216, v6
	v_add_f32_e32 v9, v160, v9
	v_fma_f32 v160, 0xbf7ba420, v141, -v221
	v_add_f32_e32 v6, v196, v6
	v_add_f32_e32 v9, v160, v9
	v_fma_f32 v160, 0x3dbcf732, v144, -v222
	v_add_f32_e32 v6, v219, v6
	v_add_f32_e32 v9, v160, v9
	v_fma_f32 v160, 0x3f6eb680, v145, -v223
	v_add_f32_e32 v161, v224, v6
	v_add_f32_e32 v6, v226, v159
	v_add_f32_e32 v9, v160, v9
	v_fma_f32 v160, 0xbf1a4643, v134, -v225
	v_add_f32_e32 v6, v187, v6
	v_add_f32_e32 v160, v160, v9
	v_fma_f32 v9, 0xbf7ba420, v140, -v229
	;; [unrolled: 3-line block ×7, first 2 shown]
	v_mov_b32_e32 v244, v39
	v_add_f32_e32 v9, v158, v9
	v_fma_f32 v158, 0xbf1a4643, v145, -v250
	v_add_f32_e32 v6, v198, v6
	v_add_f32_e32 v9, v158, v9
	v_fma_f32 v158, 0x3f3d2fb0, v134, -v253
	v_add_f32_e32 v6, v255, v6
	;; [unrolled: 3-line block ×3, first 2 shown]
	v_mov_b32_e32 v232, v15
	v_mov_b32_e32 v231, v14
	v_add_f32_e32 v9, v9, v156
	v_fma_f32 v156, 0xbf7ba420, v146, -v233
	v_add_f32_e32 v6, v199, v6
	v_add_f32_e32 v9, v156, v9
	v_fma_f32 v156, 0xbe8c1d8e, v147, -v235
	v_add_f32_e32 v6, v234, v6
	v_mov_b32_e32 v234, v21
	v_mov_b32_e32 v233, v20
	v_add_f32_e32 v9, v156, v9
	v_fma_f32 v156, 0x3f3d2fb0, v141, -v236
	v_mov_b32_e32 v236, v23
	v_mov_b32_e32 v235, v22
	v_add_f32_e32 v9, v156, v9
	v_fma_f32 v156, 0x3f6eb680, v144, -v24
	v_add_f32_e32 v9, v156, v9
	v_add_f32_e32 v156, v243, v155
	v_fma_f32 v155, 0x3dbcf732, v145, -v25
	v_mov_b32_e32 v243, v38
	v_add_f32_e32 v9, v155, v9
	v_add_f32_e32 v155, v239, v6
	;; [unrolled: 1-line block ×4, first 2 shown]
	v_fma_f32 v157, 0xbf1a4643, v146, -v208
	v_add_f32_e32 v154, v163, v9
	v_fma_f32 v9, 0x3f3d2fb0, v140, -v173
	v_mov_b32_e32 v240, v27
	v_add_f32_e32 v6, v209, v6
	v_add_f32_e32 v139, v157, v156
	v_mov_b32_e32 v209, v13
	v_add_f32_e32 v9, v9, v143
	v_mov_b32_e32 v239, v26
	v_mov_b32_e32 v208, v12
	v_add_f32_e32 v0, v0, v139
	v_add_f32_e32 v140, v153, v1
	;; [unrolled: 1-line block ×3, first 2 shown]
	v_fma_f32 v9, 0x3dbcf732, v147, -v192
	v_add_f32_e32 v138, v4, v6
	v_add_f32_e32 v0, v2, v0
	v_fma_f32 v2, 0xbe8c1d8e, v144, -v3
	v_add_f32_e32 v3, v9, v7
	v_fma_f32 v7, 0xbe8c1d8e, v141, -v8
	;; [unrolled: 2-line block ×4, first 2 shown]
	v_add_f32_e32 v0, v2, v0
	v_add_f32_e32 v2, v7, v3
	v_fma_f32 v3, 0xbf59a7d5, v145, -v11
	v_mul_u32_u24_e32 v7, 17, v44
	v_add_f32_e32 v2, v3, v2
	v_fma_f32 v3, 0xbf7ba420, v134, -v137
	v_lshlrev_b32_e32 v7, 3, v7
	v_add_f32_e32 v137, v5, v0
	v_add_f32_e32 v139, v3, v2
	ds_write2_b64 v7, v[128:129], v[148:149] offset1:1
	ds_write2_b64 v7, v[184:185], v[182:183] offset0:2 offset1:3
	ds_write2_b64 v7, v[180:181], v[178:179] offset0:4 offset1:5
	;; [unrolled: 1-line block ×7, first 2 shown]
	ds_write_b64 v7, v[139:140] offset:128
.LBB0_13:
	s_or_b32 exec_lo, exec_lo, s0
	s_waitcnt lgkmcnt(0)
	s_barrier
	buffer_gl0_inv
	ds_read_b64 v[129:130], v249 offset:13056
	s_clause 0x3
	buffer_load_dword v1, off, s[20:23], 0 offset:208
	buffer_load_dword v2, off, s[20:23], 0 offset:212
	buffer_load_dword v3, off, s[20:23], 0 offset:216
	buffer_load_dword v4, off, s[20:23], 0 offset:220
	v_add_nc_u32_e32 v22, 0x1c00, v249
	v_add_nc_u32_e32 v12, 0x2c00, v249
	;; [unrolled: 1-line block ×5, first 2 shown]
	s_mov_b32 s2, 0x87d568ce
	s_mov_b32 s3, 0x3f437851
	s_mul_hi_u32 s1, s8, 0x63
	s_waitcnt vmcnt(0) lgkmcnt(0)
	v_mul_f32_e32 v0, v4, v129
	v_mul_f32_e32 v128, v4, v130
	v_fma_f32 v23, v3, v130, -v0
	ds_read2_b64 v[130:133], v22 offset0:124 offset1:175
	v_fmac_f32_e32 v128, v3, v129
	s_waitcnt lgkmcnt(0)
	v_mul_f32_e32 v129, v2, v133
	v_mul_f32_e32 v0, v2, v132
	v_fmac_f32_e32 v129, v1, v132
	v_fma_f32 v20, v1, v133, -v0
	s_clause 0x3
	buffer_load_dword v1, off, s[20:23], 0 offset:192
	buffer_load_dword v2, off, s[20:23], 0 offset:196
	buffer_load_dword v3, off, s[20:23], 0 offset:200
	buffer_load_dword v4, off, s[20:23], 0 offset:204
	s_waitcnt vmcnt(2)
	v_mul_f32_e32 v21, v2, v131
	v_mul_f32_e32 v0, v2, v130
	v_fmac_f32_e32 v21, v1, v130
	v_fma_f32 v130, v1, v131, -v0
	ds_read2_b64 v[131:134], v12 offset0:122 offset1:173
	s_waitcnt vmcnt(0) lgkmcnt(0)
	v_mul_f32_e32 v13, v4, v134
	v_mul_f32_e32 v0, v4, v133
	v_fmac_f32_e32 v13, v3, v133
	v_fma_f32 v14, v3, v134, -v0
	s_clause 0x3
	buffer_load_dword v1, off, s[20:23], 0 offset:176
	buffer_load_dword v2, off, s[20:23], 0 offset:180
	;; [unrolled: 1-line block ×4, first 2 shown]
	ds_read2_b64 v[135:138], v10 offset0:150 offset1:201
	s_waitcnt vmcnt(0)
	v_mul_f32_e32 v15, v4, v132
	v_mul_f32_e32 v0, v4, v131
	s_clause 0x3
	buffer_load_dword v4, off, s[20:23], 0 offset:160
	buffer_load_dword v5, off, s[20:23], 0 offset:164
	;; [unrolled: 1-line block ×4, first 2 shown]
	v_fmac_f32_e32 v15, v3, v131
	v_fma_f32 v132, v3, v132, -v0
	s_waitcnt lgkmcnt(0)
	v_mul_f32_e32 v0, v2, v137
	v_mul_f32_e32 v131, v2, v138
	v_fma_f32 v133, v1, v138, -v0
	v_fmac_f32_e32 v131, v1, v137
	s_waitcnt vmcnt(2)
	v_mul_f32_e32 v0, v5, v135
	v_mul_f32_e32 v134, v5, v136
	v_fma_f32 v5, v4, v136, -v0
	ds_read2_b64 v[136:139], v9 offset0:148 offset1:199
	s_clause 0x3
	buffer_load_dword v24, off, s[20:23], 0 offset:144
	buffer_load_dword v25, off, s[20:23], 0 offset:148
	;; [unrolled: 1-line block ×4, first 2 shown]
	v_fmac_f32_e32 v134, v4, v135
	s_waitcnt vmcnt(4) lgkmcnt(0)
	v_mul_f32_e32 v0, v7, v138
	v_mul_f32_e32 v4, v7, v139
	v_add_nc_u32_e32 v7, 0x1000, v249
	v_fma_f32 v135, v6, v139, -v0
	v_fmac_f32_e32 v4, v6, v138
	v_add_nc_u32_e32 v6, 0x2000, v249
	s_waitcnt vmcnt(0)
	v_mul_f32_e32 v140, v27, v137
	v_mul_f32_e32 v0, v27, v136
	v_fmac_f32_e32 v140, v26, v136
	v_fma_f32 v141, v26, v137, -v0
	ds_read2_b64 v[136:139], v10 offset0:48 offset1:99
	s_waitcnt lgkmcnt(0)
	v_mul_f32_e32 v142, v25, v139
	v_mul_f32_e32 v0, v25, v138
	v_fmac_f32_e32 v142, v24, v138
	v_fma_f32 v138, v24, v139, -v0
	s_clause 0x3
	buffer_load_dword v24, off, s[20:23], 0 offset:228
	buffer_load_dword v25, off, s[20:23], 0 offset:232
	;; [unrolled: 1-line block ×4, first 2 shown]
	s_waitcnt vmcnt(2)
	v_mul_f32_e32 v139, v25, v137
	v_mul_f32_e32 v0, v25, v136
	v_fmac_f32_e32 v139, v24, v136
	v_fma_f32 v136, v24, v137, -v0
	ds_read2_b64 v[0:3], v9 offset0:46 offset1:97
	s_waitcnt vmcnt(0) lgkmcnt(0)
	v_mul_f32_e32 v137, v27, v3
	v_mul_f32_e32 v144, v59, v1
	v_fmac_f32_e32 v137, v26, v2
	v_mul_f32_e32 v2, v27, v2
	v_fmac_f32_e32 v144, v58, v0
	v_mul_f32_e32 v0, v59, v0
	v_fma_f32 v143, v26, v3, -v2
	ds_read2_b64 v[24:27], v249 offset1:51
	v_fma_f32 v145, v58, v1, -v0
	ds_read2_b64 v[0:3], v7 offset0:202 offset1:253
	s_waitcnt lgkmcnt(0)
	v_mul_f32_e32 v146, v57, v3
	v_mul_f32_e32 v148, v73, v1
	v_fmac_f32_e32 v146, v56, v2
	v_mul_f32_e32 v2, v57, v2
	v_fmac_f32_e32 v148, v72, v0
	v_mul_f32_e32 v0, v73, v0
	v_fma_f32 v147, v56, v3, -v2
	v_fma_f32 v149, v72, v1, -v0
	ds_read2_b64 v[0:3], v6 offset0:200 offset1:251
	s_waitcnt lgkmcnt(0)
	v_mul_f32_e32 v150, v75, v3
	v_fmac_f32_e32 v150, v74, v2
	v_mul_f32_e32 v2, v75, v2
	v_mul_f32_e32 v75, v71, v1
	v_fma_f32 v74, v74, v3, -v2
	v_fmac_f32_e32 v75, v70, v0
	v_mul_f32_e32 v0, v71, v0
	v_fma_f32 v151, v70, v1, -v0
	ds_read2_b64 v[0:3], v7 offset0:100 offset1:151
	s_waitcnt lgkmcnt(0)
	v_mul_f32_e32 v152, v69, v3
	v_mul_f32_e32 v154, v53, v1
	v_fmac_f32_e32 v152, v68, v2
	v_mul_f32_e32 v2, v69, v2
	v_fmac_f32_e32 v154, v52, v0
	v_mul_f32_e32 v0, v53, v0
	v_fma_f32 v153, v68, v3, -v2
	v_fma_f32 v155, v52, v1, -v0
	ds_read2_b64 v[0:3], v6 offset0:98 offset1:149
	s_waitcnt lgkmcnt(0)
	v_mul_f32_e32 v156, v55, v3
	v_mul_f32_e32 v11, v51, v1
	v_fmac_f32_e32 v156, v54, v2
	v_mul_f32_e32 v2, v55, v2
	v_fmac_f32_e32 v11, v50, v0
	v_mul_f32_e32 v0, v51, v0
	v_fma_f32 v157, v54, v3, -v2
	v_fma_f32 v50, v50, v1, -v0
	ds_read2_b64 v[0:3], v8 offset0:126 offset1:177
	s_waitcnt lgkmcnt(0)
	v_mul_f32_e32 v51, v49, v3
	v_fmac_f32_e32 v51, v48, v2
	v_mul_f32_e32 v2, v49, v2
	v_add_f32_e32 v49, v51, v11
	v_fma_f32 v2, v48, v3, -v2
	v_sub_f32_e32 v159, v51, v11
	v_add_f32_e32 v3, v25, v2
	v_add_f32_e32 v48, v2, v50
	v_sub_f32_e32 v158, v2, v50
	v_add_f32_e32 v2, v24, v51
	v_fma_f32 v24, -0.5, v49, v24
	v_add_f32_e32 v3, v3, v50
	v_fma_f32 v25, -0.5, v48, v25
	v_add_f32_e32 v2, v2, v11
	v_add_nc_u32_e32 v11, 0x800, v249
	ds_read2_b64 v[48:51], v249 offset0:102 offset1:153
	ds_read2_b64 v[52:55], v249 offset0:204 offset1:255
	;; [unrolled: 1-line block ×4, first 2 shown]
	s_waitcnt lgkmcnt(0)
	s_barrier
	buffer_gl0_inv
	buffer_load_dword v36, off, s[20:23], 0 offset:224 ; 4-byte Folded Reload
	v_fmamk_f32 v72, v158, 0xbf5db3d7, v24
	v_fmamk_f32 v73, v159, 0x3f5db3d7, v25
	v_fmac_f32_e32 v24, 0x3f5db3d7, v158
	v_fmac_f32_e32 v25, 0xbf5db3d7, v159
	s_waitcnt vmcnt(0)
	ds_write2_b64 v36, v[2:3], v[72:73] offset1:17
	ds_write_b64 v36, v[24:25] offset:272
	buffer_load_dword v36, off, s[20:23], 0 offset:248 ; 4-byte Folded Reload
	v_add_f32_e32 v2, v154, v156
	v_add_f32_e32 v25, v155, v157
	;; [unrolled: 1-line block ×3, first 2 shown]
	v_sub_f32_e32 v72, v155, v157
	v_sub_f32_e32 v73, v154, v156
	v_fma_f32 v26, -0.5, v2, v26
	v_add_f32_e32 v2, v27, v155
	v_fmac_f32_e32 v27, -0.5, v25
	v_add_f32_e32 v3, v2, v157
	v_add_f32_e32 v2, v24, v156
	v_fmamk_f32 v24, v72, 0xbf5db3d7, v26
	v_fmamk_f32 v25, v73, 0x3f5db3d7, v27
	v_fmac_f32_e32 v26, 0x3f5db3d7, v72
	v_fmac_f32_e32 v27, 0xbf5db3d7, v73
	v_sub_f32_e32 v72, v153, v151
	s_waitcnt vmcnt(0)
	ds_write2_b64 v36, v[2:3], v[24:25] offset1:17
	ds_write_b64 v36, v[26:27] offset:272
	buffer_load_dword v36, off, s[20:23], 0 offset:244 ; 4-byte Folded Reload
	v_add_f32_e32 v2, v49, v153
	v_add_f32_e32 v25, v153, v151
	;; [unrolled: 1-line block ×5, first 2 shown]
	v_fma_f32 v24, -0.5, v24, v48
	v_fma_f32 v25, -0.5, v25, v49
	v_sub_f32_e32 v48, v152, v75
	v_sub_f32_e32 v49, v146, v144
	v_add_f32_e32 v2, v2, v75
	v_fmamk_f32 v26, v72, 0xbf5db3d7, v24
	v_fmac_f32_e32 v24, 0x3f5db3d7, v72
	v_fmamk_f32 v27, v48, 0x3f5db3d7, v25
	v_fmac_f32_e32 v25, 0xbf5db3d7, v48
	v_sub_f32_e32 v48, v147, v145
	s_waitcnt vmcnt(0)
	ds_write2_b64 v36, v[2:3], v[26:27] offset1:17
	ds_write_b64 v36, v[24:25] offset:272
	buffer_load_dword v36, off, s[20:23], 0 offset:252 ; 4-byte Folded Reload
	v_add_f32_e32 v2, v148, v150
	v_add_f32_e32 v25, v149, v74
	v_add_f32_e32 v24, v50, v148
	v_sub_f32_e32 v26, v149, v74
	v_sub_f32_e32 v27, v148, v150
	v_fma_f32 v50, -0.5, v2, v50
	v_add_f32_e32 v2, v51, v149
	v_fmac_f32_e32 v51, -0.5, v25
	v_add_f32_e32 v3, v2, v74
	v_add_f32_e32 v2, v24, v150
	v_fmamk_f32 v24, v26, 0xbf5db3d7, v50
	v_fmamk_f32 v25, v27, 0x3f5db3d7, v51
	v_fmac_f32_e32 v50, 0x3f5db3d7, v26
	v_fmac_f32_e32 v51, 0xbf5db3d7, v27
	s_waitcnt vmcnt(0)
	ds_write2_b64 v36, v[2:3], v[24:25] offset1:17
	ds_write_b64 v36, v[50:51] offset:272
	buffer_load_dword v36, off, s[20:23], 0 offset:256 ; 4-byte Folded Reload
	v_add_f32_e32 v2, v53, v147
	v_add_f32_e32 v25, v147, v145
	;; [unrolled: 1-line block ×5, first 2 shown]
	v_fma_f32 v24, -0.5, v24, v52
	v_fma_f32 v25, -0.5, v25, v53
	v_add_f32_e32 v2, v2, v144
	v_fmamk_f32 v26, v48, 0xbf5db3d7, v24
	v_fmamk_f32 v27, v49, 0x3f5db3d7, v25
	v_fmac_f32_e32 v24, 0x3f5db3d7, v48
	v_fmac_f32_e32 v25, 0xbf5db3d7, v49
	v_sub_f32_e32 v48, v138, v141
	v_sub_f32_e32 v49, v142, v140
	s_waitcnt vmcnt(0)
	ds_write2_b64 v36, v[2:3], v[26:27] offset1:17
	ds_write_b64 v36, v[24:25] offset:272
	buffer_load_dword v36, off, s[20:23], 0 offset:264 ; 4-byte Folded Reload
	v_add_f32_e32 v2, v139, v137
	v_add_f32_e32 v25, v136, v143
	;; [unrolled: 1-line block ×3, first 2 shown]
	v_sub_f32_e32 v26, v136, v143
	v_sub_f32_e32 v27, v139, v137
	v_fma_f32 v54, -0.5, v2, v54
	v_add_f32_e32 v2, v55, v136
	v_fmac_f32_e32 v55, -0.5, v25
	v_add_f32_e32 v3, v2, v143
	v_add_f32_e32 v2, v24, v137
	v_fmamk_f32 v24, v26, 0xbf5db3d7, v54
	v_fmamk_f32 v25, v27, 0x3f5db3d7, v55
	v_fmac_f32_e32 v54, 0x3f5db3d7, v26
	v_fmac_f32_e32 v55, 0xbf5db3d7, v27
	s_waitcnt vmcnt(0)
	ds_write2_b64 v36, v[2:3], v[24:25] offset1:17
	ds_write_b64 v36, v[54:55] offset:272
	buffer_load_dword v36, off, s[20:23], 0 offset:272 ; 4-byte Folded Reload
	v_add_f32_e32 v2, v57, v138
	v_add_f32_e32 v25, v138, v141
	v_add_f32_e32 v24, v142, v140
	v_add_f32_e32 v3, v2, v141
	v_add_f32_e32 v2, v56, v142
	v_fma_f32 v24, -0.5, v24, v56
	v_fma_f32 v25, -0.5, v25, v57
	v_add_f32_e32 v2, v2, v140
	v_fmamk_f32 v26, v48, 0xbf5db3d7, v24
	v_fmamk_f32 v27, v49, 0x3f5db3d7, v25
	v_fmac_f32_e32 v24, 0x3f5db3d7, v48
	v_fmac_f32_e32 v25, 0xbf5db3d7, v49
	s_waitcnt vmcnt(0)
	ds_write2_b64 v36, v[2:3], v[26:27] offset1:17
	ds_write_b64 v36, v[24:25] offset:272
	v_add_f32_e32 v2, v134, v4
	v_add_f32_e32 v25, v5, v135
	;; [unrolled: 1-line block ×3, first 2 shown]
	buffer_load_dword v27, off, s[20:23], 0 offset:296 ; 4-byte Folded Reload
	v_sub_f32_e32 v26, v5, v135
	v_fma_f32 v58, -0.5, v2, v58
	v_add_f32_e32 v2, v59, v5
	v_fmac_f32_e32 v59, -0.5, v25
	buffer_load_dword v25, off, s[20:23], 0 offset:268 ; 4-byte Folded Reload
	v_add_f32_e32 v3, v2, v135
	v_add_f32_e32 v2, v24, v4
	v_sub_f32_e32 v24, v134, v4
	v_fmamk_f32 v4, v26, 0xbf5db3d7, v58
	v_fmac_f32_e32 v58, 0x3f5db3d7, v26
	v_sub_f32_e32 v26, v133, v132
	v_fmamk_f32 v5, v24, 0x3f5db3d7, v59
	v_fmac_f32_e32 v59, 0xbf5db3d7, v24
	s_waitcnt vmcnt(0)
	ds_write2_b64 v25, v[2:3], v[4:5] offset1:17
	v_add_f32_e32 v2, v69, v133
	v_add_f32_e32 v5, v133, v132
	;; [unrolled: 1-line block ×3, first 2 shown]
	ds_write_b64 v25, v[58:59] offset:272
	v_add_f32_e32 v3, v2, v132
	v_add_f32_e32 v2, v68, v131
	v_fma_f32 v4, -0.5, v4, v68
	v_fma_f32 v5, -0.5, v5, v69
	v_add_f32_e32 v2, v2, v15
	v_sub_f32_e32 v15, v131, v15
	v_fmamk_f32 v24, v26, 0xbf5db3d7, v4
	v_fmac_f32_e32 v4, 0x3f5db3d7, v26
	v_fmamk_f32 v25, v15, 0x3f5db3d7, v5
	v_fmac_f32_e32 v5, 0xbf5db3d7, v15
	v_sub_f32_e32 v15, v130, v14
	ds_write2_b64 v27, v[2:3], v[24:25] offset1:17
	v_add_f32_e32 v2, v21, v13
	ds_write_b64 v27, v[4:5] offset:272
	v_add_f32_e32 v4, v70, v21
	v_add_f32_e32 v5, v130, v14
	v_fma_f32 v70, -0.5, v2, v70
	v_add_f32_e32 v2, v71, v130
	v_fmac_f32_e32 v71, -0.5, v5
	v_add_f32_e32 v3, v2, v14
	buffer_load_dword v14, off, s[20:23], 0 offset:292 ; 4-byte Folded Reload
	v_add_f32_e32 v2, v4, v13
	v_fmamk_f32 v4, v15, 0xbf5db3d7, v70
	v_fmac_f32_e32 v70, 0x3f5db3d7, v15
	buffer_load_dword v15, off, s[20:23], 0 offset:316 ; 4-byte Folded Reload
	v_sub_f32_e32 v13, v21, v13
	v_fmamk_f32 v5, v13, 0x3f5db3d7, v71
	v_fmac_f32_e32 v71, 0xbf5db3d7, v13
	v_sub_f32_e32 v13, v20, v23
	s_waitcnt vmcnt(1)
	ds_write2_b64 v14, v[2:3], v[4:5] offset1:17
	v_add_f32_e32 v2, v129, v128
	v_add_f32_e32 v4, v0, v129
	ds_write_b64 v14, v[70:71] offset:272
	v_add_f32_e32 v3, v1, v20
	v_sub_f32_e32 v14, v129, v128
	v_fma_f32 v0, -0.5, v2, v0
	v_add_f32_e32 v2, v20, v23
	v_add_f32_e32 v3, v3, v23
	v_fmac_f32_e32 v1, -0.5, v2
	v_add_f32_e32 v2, v4, v128
	v_fmamk_f32 v4, v13, 0xbf5db3d7, v0
	v_fmac_f32_e32 v0, 0x3f5db3d7, v13
	v_fmamk_f32 v5, v14, 0x3f5db3d7, v1
	v_fmac_f32_e32 v1, 0xbf5db3d7, v14
	s_waitcnt vmcnt(0)
	ds_write2_b64 v15, v[2:3], v[4:5] offset1:17
	ds_write_b64 v15, v[0:1] offset:272
	s_waitcnt lgkmcnt(0)
	s_barrier
	buffer_gl0_inv
	ds_read_b64 v[0:1], v249 offset:13056
	s_waitcnt lgkmcnt(0)
	v_mul_f32_e32 v13, v87, v1
	v_fmac_f32_e32 v13, v86, v0
	v_mul_f32_e32 v0, v87, v0
	v_fma_f32 v21, v86, v1, -v0
	ds_read2_b64 v[0:3], v9 offset0:148 offset1:199
	s_waitcnt lgkmcnt(0)
	v_mul_f32_e32 v14, v85, v3
	v_mul_f32_e32 v48, v65, v1
	v_fmac_f32_e32 v14, v84, v2
	v_mul_f32_e32 v2, v85, v2
	v_fmac_f32_e32 v48, v64, v0
	v_mul_f32_e32 v0, v65, v0
	v_fma_f32 v20, v84, v3, -v2
	v_fma_f32 v49, v64, v1, -v0
	ds_read2_b64 v[0:3], v12 offset0:122 offset1:173
	s_waitcnt lgkmcnt(0)
	v_mul_f32_e32 v4, v67, v1
	v_mul_f32_e32 v52, v67, v3
	v_fmac_f32_e32 v4, v66, v0
	v_mul_f32_e32 v0, v67, v0
	v_fmac_f32_e32 v52, v66, v2
	v_fma_f32 v5, v66, v1, -v0
	v_mul_f32_e32 v0, v67, v2
	v_fma_f32 v53, v66, v3, -v0
	ds_read2_b64 v[0:3], v9 offset0:46 offset1:97
	s_waitcnt lgkmcnt(0)
	v_mul_f32_e32 v85, v65, v3
	v_mul_f32_e32 v24, v83, v1
	v_fmac_f32_e32 v85, v64, v2
	v_mul_f32_e32 v2, v65, v2
	v_fmac_f32_e32 v24, v82, v0
	v_mul_f32_e32 v0, v83, v0
	v_fma_f32 v84, v64, v3, -v2
	v_fma_f32 v25, v82, v1, -v0
	ds_read2_b64 v[0:3], v6 offset0:98 offset1:149
	s_waitcnt lgkmcnt(0)
	v_mul_f32_e32 v15, v81, v3
	v_mul_f32_e32 v50, v41, v1
	v_fmac_f32_e32 v15, v80, v2
	v_mul_f32_e32 v2, v81, v2
	v_fmac_f32_e32 v50, v40, v0
	v_mul_f32_e32 v0, v41, v0
	v_fma_f32 v23, v80, v3, -v2
	v_fma_f32 v51, v40, v1, -v0
	ds_read2_b64 v[0:3], v6 offset0:200 offset1:251
	s_waitcnt lgkmcnt(0)
	v_mul_f32_e32 v129, v43, v1
	v_mul_f32_e32 v54, v43, v3
	v_fmac_f32_e32 v129, v42, v0
	v_mul_f32_e32 v0, v43, v0
	v_fmac_f32_e32 v54, v42, v2
	v_fma_f32 v128, v42, v1, -v0
	v_mul_f32_e32 v0, v43, v2
	v_fma_f32 v55, v42, v3, -v0
	ds_read2_b64 v[0:3], v22 offset0:124 offset1:175
	s_waitcnt lgkmcnt(0)
	v_mul_f32_e32 v135, v41, v3
	v_mul_f32_e32 v26, v79, v1
	v_fmac_f32_e32 v135, v40, v2
	v_mul_f32_e32 v2, v41, v2
	v_fmac_f32_e32 v26, v78, v0
	v_mul_f32_e32 v0, v79, v0
	v_fma_f32 v134, v40, v3, -v2
	v_fma_f32 v40, v78, v1, -v0
	ds_read2_b64 v[0:3], v10 offset0:48 offset1:99
	s_waitcnt lgkmcnt(0)
	v_mul_f32_e32 v27, v77, v3
	v_mul_f32_e32 v42, v33, v1
	v_fmac_f32_e32 v27, v76, v2
	v_mul_f32_e32 v2, v77, v2
	v_fmac_f32_e32 v42, v32, v0
	v_mul_f32_e32 v0, v33, v0
	v_fma_f32 v41, v76, v3, -v2
	v_fma_f32 v43, v32, v1, -v0
	ds_read2_b64 v[0:3], v10 offset0:150 offset1:201
	s_waitcnt lgkmcnt(0)
	v_mul_f32_e32 v139, v35, v1
	v_mul_f32_e32 v56, v35, v3
	v_fmac_f32_e32 v139, v34, v0
	v_mul_f32_e32 v0, v35, v0
	v_fmac_f32_e32 v56, v34, v2
	v_fma_f32 v138, v34, v1, -v0
	v_mul_f32_e32 v0, v35, v2
	v_fma_f32 v57, v34, v3, -v0
	ds_read2_b64 v[0:3], v7 offset0:202 offset1:253
	s_waitcnt lgkmcnt(0)
	v_mul_f32_e32 v142, v33, v3
	v_fmac_f32_e32 v142, v32, v2
	v_mul_f32_e32 v2, v33, v2
	v_fma_f32 v143, v32, v3, -v2
	v_mul_f32_e32 v32, v63, v1
	v_fmac_f32_e32 v32, v62, v0
	v_mul_f32_e32 v0, v63, v0
	v_fma_f32 v33, v62, v1, -v0
	ds_read2_b64 v[0:3], v8 offset0:126 offset1:177
	s_waitcnt lgkmcnt(0)
	v_mul_f32_e32 v34, v61, v3
	v_mul_f32_e32 v59, v29, v1
	v_fmac_f32_e32 v34, v60, v2
	v_mul_f32_e32 v2, v61, v2
	v_fmac_f32_e32 v59, v28, v0
	v_mul_f32_e32 v0, v29, v0
	v_fma_f32 v35, v60, v3, -v2
	v_fma_f32 v61, v28, v1, -v0
	ds_read2_b64 v[0:3], v7 offset0:100 offset1:151
	s_waitcnt lgkmcnt(0)
	v_mul_f32_e32 v136, v31, v1
	v_mul_f32_e32 v58, v31, v3
	v_fmac_f32_e32 v136, v30, v0
	v_mul_f32_e32 v0, v31, v0
	v_fmac_f32_e32 v58, v30, v2
	v_fma_f32 v137, v30, v1, -v0
	v_mul_f32_e32 v0, v31, v2
	v_fma_f32 v60, v30, v3, -v0
	ds_read2_b64 v[0:3], v11 offset0:152 offset1:203
	s_clause 0x3
	buffer_load_dword v36, off, s[20:23], 0 offset:276
	buffer_load_dword v37, off, s[20:23], 0 offset:280
	;; [unrolled: 1-line block ×4, first 2 shown]
	ds_read2_b64 v[150:153], v249 offset1:51
	s_waitcnt lgkmcnt(1)
	v_mul_f32_e32 v132, v29, v3
	v_fmac_f32_e32 v132, v28, v2
	v_mul_f32_e32 v2, v29, v2
	v_fma_f32 v133, v28, v3, -v2
	s_waitcnt vmcnt(0)
	v_mul_f32_e32 v28, v39, v1
	v_fmac_f32_e32 v28, v38, v0
	v_mul_f32_e32 v0, v39, v0
	v_fma_f32 v29, v38, v1, -v0
	ds_read2_b64 v[0:3], v249 offset0:204 offset1:255
	s_waitcnt lgkmcnt(0)
	v_mul_f32_e32 v30, v37, v3
	v_fmac_f32_e32 v30, v36, v2
	v_mul_f32_e32 v2, v37, v2
	v_mul_f32_e32 v37, v17, v1
	v_fma_f32 v31, v36, v3, -v2
	v_fmac_f32_e32 v37, v16, v0
	v_mul_f32_e32 v0, v17, v0
	v_add_f32_e32 v79, v37, v52
	v_fma_f32 v38, v16, v1, -v0
	ds_read2_b64 v[0:3], v11 offset0:50 offset1:101
	s_waitcnt lgkmcnt(0)
	v_mul_f32_e32 v86, v19, v1
	v_mul_f32_e32 v36, v19, v3
	v_fmac_f32_e32 v86, v18, v0
	v_mul_f32_e32 v0, v19, v0
	v_fmac_f32_e32 v36, v18, v2
	v_fma_f32 v87, v18, v1, -v0
	v_mul_f32_e32 v0, v19, v2
	v_fma_f32 v18, v18, v3, -v0
	ds_read2_b64 v[0:3], v249 offset0:102 offset1:153
	s_waitcnt lgkmcnt(0)
	s_barrier
	buffer_gl0_inv
	buffer_load_dword v44, off, s[20:23], 0 offset:260 ; 4-byte Folded Reload
	v_mul_f32_e32 v19, v17, v2
	v_fma_f32 v19, v16, v3, -v19
	v_mul_f32_e32 v3, v17, v3
	v_sub_f32_e32 v62, v19, v5
	v_fmac_f32_e32 v3, v16, v2
	v_add_f32_e32 v176, v151, v19
	v_mul_f32_e32 v16, 0xbf0a6770, v62
	v_add_f32_e32 v67, v3, v4
	v_mul_f32_e32 v39, 0xbf68dda4, v62
	v_mul_f32_e32 v63, 0xbf7d64f0, v62
	;; [unrolled: 1-line block ×4, first 2 shown]
	v_fmamk_f32 v2, v67, 0x3f575c64, v16
	v_fma_f32 v16, 0x3f575c64, v67, -v16
	v_fmamk_f32 v17, v67, 0x3ed4b147, v39
	v_fma_f32 v39, 0x3ed4b147, v67, -v39
	;; [unrolled: 2-line block ×5, first 2 shown]
	v_add_f32_e32 v68, v19, v5
	v_sub_f32_e32 v77, v3, v4
	v_add_f32_e32 v3, v150, v3
	v_add_f32_e32 v177, v150, v2
	;; [unrolled: 1-line block ×3, first 2 shown]
	v_mul_f32_e32 v73, 0x3f575c64, v68
	v_mul_f32_e32 v71, 0x3ed4b147, v68
	v_mul_f32_e32 v70, 0xbe11bafb, v68
	v_mul_f32_e32 v69, 0xbf27a4f4, v68
	v_mul_f32_e32 v68, 0xbf75a155, v68
	v_fmamk_f32 v76, v77, 0x3f0a6770, v73
	v_fmac_f32_e32 v73, 0xbf0a6770, v77
	v_fmamk_f32 v75, v77, 0x3f68dda4, v71
	v_fmac_f32_e32 v71, 0xbf68dda4, v77
	;; [unrolled: 2-line block ×5, first 2 shown]
	v_sub_f32_e32 v77, v38, v53
	v_add_f32_e32 v2, v3, v86
	v_add_f32_e32 v3, v176, v87
	;; [unrolled: 1-line block ×4, first 2 shown]
	v_mul_f32_e32 v80, 0xbf0a6770, v77
	v_add_f32_e32 v2, v2, v132
	v_add_f32_e32 v3, v3, v133
	v_mul_f32_e32 v81, 0xbf4178ce, v77
	v_add_f32_e32 v82, v151, v71
	v_fmamk_f32 v154, v79, 0x3f575c64, v80
	v_fma_f32 v155, 0x3f575c64, v79, -v80
	v_mul_f32_e32 v80, 0xbf68dda4, v77
	v_add_f32_e32 v2, v2, v136
	v_add_f32_e32 v3, v3, v137
	v_fmamk_f32 v162, v79, 0xbf27a4f4, v81
	v_fma_f32 v163, 0xbf27a4f4, v79, -v81
	v_fmamk_f32 v157, v79, 0x3ed4b147, v80
	v_fma_f32 v158, 0x3ed4b147, v79, -v80
	v_mul_f32_e32 v80, 0xbf7d64f0, v77
	v_mul_f32_e32 v77, 0xbe903f40, v77
	v_add_f32_e32 v2, v2, v142
	v_add_f32_e32 v3, v3, v143
	v_add_f32_e32 v148, v151, v78
	v_fmamk_f32 v160, v79, 0xbe11bafb, v80
	v_fmamk_f32 v164, v79, 0xbf75a155, v77
	v_fma_f32 v165, 0xbf75a155, v79, -v77
	v_add_f32_e32 v77, v38, v53
	v_add_f32_e32 v2, v2, v139
	;; [unrolled: 1-line block ×3, first 2 shown]
	v_fma_f32 v161, 0xbe11bafb, v79, -v80
	v_sub_f32_e32 v79, v37, v52
	v_mul_f32_e32 v166, 0x3f575c64, v77
	v_mul_f32_e32 v168, 0x3ed4b147, v77
	;; [unrolled: 1-line block ×5, first 2 shown]
	v_add_f32_e32 v2, v2, v135
	v_add_f32_e32 v3, v3, v134
	v_fmamk_f32 v167, v79, 0x3f0a6770, v166
	v_fmac_f32_e32 v166, 0xbf0a6770, v79
	v_fmamk_f32 v169, v79, 0x3f68dda4, v168
	v_fmac_f32_e32 v168, 0xbf68dda4, v79
	;; [unrolled: 2-line block ×5, first 2 shown]
	v_add_f32_e32 v77, v151, v73
	v_add_f32_e32 v80, v151, v70
	;; [unrolled: 1-line block ×8, first 2 shown]
	v_sub_f32_e32 v151, v87, v84
	v_add_f32_e32 v76, v150, v16
	v_add_f32_e32 v83, v150, v39
	;; [unrolled: 1-line block ×23, first 2 shown]
	v_sub_f32_e32 v85, v86, v85
	v_mul_f32_e32 v86, 0xbf68dda4, v151
	v_sub_f32_e32 v153, v133, v128
	v_add_f32_e32 v78, v152, v37
	v_add_f32_e32 v75, v152, v154
	;; [unrolled: 1-line block ×12, first 2 shown]
	v_fmamk_f32 v4, v84, 0x3ed4b147, v86
	v_add_f32_e32 v152, v133, v128
	v_add_f32_e32 v128, v132, v129
	v_sub_f32_e32 v129, v132, v129
	v_mul_f32_e32 v132, 0xbf7d64f0, v153
	v_add_f32_e32 v4, v4, v177
	v_mul_f32_e32 v87, 0x3ed4b147, v150
	v_add_f32_e32 v3, v3, v5
	v_sub_f32_e32 v155, v137, v134
	v_fmamk_f32 v133, v128, 0xbe11bafb, v132
	v_sub_f32_e32 v158, v143, v138
	v_fmamk_f32 v5, v85, 0x3f68dda4, v87
	v_mul_f32_e32 v161, 0xbf75a155, v152
	v_mul_f32_e32 v162, 0x3f7d64f0, v155
	v_add_f32_e32 v4, v133, v4
	v_mul_f32_e32 v133, 0xbe11bafb, v152
	v_add_f32_e32 v5, v5, v178
	v_mul_f32_e32 v164, 0x3f0a6770, v158
	v_mul_f32_e32 v166, 0x3e903f40, v151
	;; [unrolled: 1-line block ×3, first 2 shown]
	v_fmamk_f32 v154, v129, 0x3f7d64f0, v133
	v_mul_f32_e32 v174, 0xbe903f40, v155
	v_mul_f32_e32 v176, 0x3f68dda4, v158
	v_fmac_f32_e32 v87, 0xbf68dda4, v85
	v_fmac_f32_e32 v133, 0xbf7d64f0, v129
	v_add_f32_e32 v5, v154, v5
	v_add_f32_e32 v154, v137, v134
	;; [unrolled: 1-line block ×3, first 2 shown]
	v_sub_f32_e32 v135, v136, v135
	v_mul_f32_e32 v136, 0xbf4178ce, v155
	v_mul_f32_e32 v163, 0xbe11bafb, v154
	v_mul_f32_e32 v175, 0xbf75a155, v154
	v_fmamk_f32 v137, v134, 0xbf27a4f4, v136
	v_add_f32_e32 v4, v137, v4
	v_mul_f32_e32 v137, 0xbf27a4f4, v154
	v_fmamk_f32 v157, v135, 0x3f4178ce, v137
	v_fmac_f32_e32 v137, 0xbf4178ce, v135
	v_add_f32_e32 v5, v157, v5
	v_add_f32_e32 v157, v143, v138
	;; [unrolled: 1-line block ×3, first 2 shown]
	v_sub_f32_e32 v139, v142, v139
	v_mul_f32_e32 v142, 0xbe903f40, v158
	v_mul_f32_e32 v165, 0x3f575c64, v157
	;; [unrolled: 1-line block ×3, first 2 shown]
	v_fmamk_f32 v143, v138, 0xbf75a155, v142
	v_add_f32_e32 v4, v143, v4
	v_mul_f32_e32 v143, 0xbf75a155, v157
	v_fmamk_f32 v160, v139, 0x3e903f40, v143
	v_fmac_f32_e32 v143, 0xbe903f40, v139
	v_add_f32_e32 v5, v160, v5
	v_mul_f32_e32 v160, 0xbf4178ce, v151
	ds_write2_b64 v249, v[2:3], v[4:5] offset1:51
	v_fmamk_f32 v2, v84, 0xbf27a4f4, v160
	v_add_f32_e32 v2, v2, v159
	v_mul_f32_e32 v159, 0xbf27a4f4, v150
	v_fmamk_f32 v3, v85, 0x3f4178ce, v159
	v_fmac_f32_e32 v159, 0xbf4178ce, v85
	v_add_f32_e32 v3, v3, v156
	v_mul_f32_e32 v156, 0x3e903f40, v153
	v_fmamk_f32 v4, v128, 0xbf75a155, v156
	v_add_f32_e32 v2, v4, v2
	v_fmamk_f32 v4, v129, 0xbe903f40, v161
	v_fmac_f32_e32 v161, 0x3e903f40, v129
	v_add_f32_e32 v3, v4, v3
	v_fmamk_f32 v4, v134, 0xbe11bafb, v162
	v_add_f32_e32 v2, v4, v2
	v_fmamk_f32 v4, v135, 0xbf7d64f0, v163
	v_fmac_f32_e32 v163, 0x3f7d64f0, v135
	v_add_f32_e32 v3, v4, v3
	;; [unrolled: 5-line block ×3, first 2 shown]
	v_fmamk_f32 v4, v84, 0xbf75a155, v166
	v_add_f32_e32 v4, v4, v149
	v_mul_f32_e32 v149, 0xbf75a155, v150
	v_fmamk_f32 v5, v85, 0xbe903f40, v149
	v_fmac_f32_e32 v149, 0x3e903f40, v85
	v_add_f32_e32 v5, v5, v148
	v_mul_f32_e32 v148, 0x3f68dda4, v153
	v_fmamk_f32 v167, v128, 0x3ed4b147, v148
	v_add_f32_e32 v4, v167, v4
	v_mul_f32_e32 v167, 0x3ed4b147, v152
	v_fmamk_f32 v168, v129, 0xbf68dda4, v167
	v_fmac_f32_e32 v167, 0x3f68dda4, v129
	v_add_f32_e32 v5, v168, v5
	v_mul_f32_e32 v168, 0xbf0a6770, v155
	;; [unrolled: 7-line block ×4, first 2 shown]
	v_mul_f32_e32 v151, 0x3f0a6770, v151
	ds_write2_b64 v249, v[2:3], v[4:5] offset0:102 offset1:153
	v_fmamk_f32 v2, v84, 0xbe11bafb, v172
	v_add_f32_e32 v2, v2, v147
	v_mul_f32_e32 v147, 0xbe11bafb, v150
	v_fmamk_f32 v3, v85, 0xbf7d64f0, v147
	v_fmac_f32_e32 v147, 0x3f7d64f0, v85
	v_add_f32_e32 v3, v3, v146
	v_mul_f32_e32 v146, 0xbf0a6770, v153
	v_fmamk_f32 v4, v128, 0x3f575c64, v146
	v_add_f32_e32 v2, v4, v2
	v_fmamk_f32 v4, v129, 0x3f0a6770, v173
	v_fmac_f32_e32 v173, 0xbf0a6770, v129
	v_add_f32_e32 v3, v4, v3
	v_fmamk_f32 v4, v134, 0xbf75a155, v174
	v_add_f32_e32 v2, v4, v2
	v_fmamk_f32 v4, v135, 0x3e903f40, v175
	v_fmac_f32_e32 v175, 0xbe903f40, v135
	v_add_f32_e32 v3, v4, v3
	;; [unrolled: 5-line block ×3, first 2 shown]
	v_fmamk_f32 v4, v84, 0x3f575c64, v151
	v_add_f32_e32 v4, v4, v145
	v_mul_f32_e32 v145, 0x3f575c64, v150
	v_fmamk_f32 v5, v85, 0xbf0a6770, v145
	v_fmac_f32_e32 v145, 0x3f0a6770, v85
	v_add_f32_e32 v5, v5, v144
	v_mul_f32_e32 v144, 0xbf4178ce, v153
	v_fmamk_f32 v150, v128, 0xbf27a4f4, v144
	v_add_f32_e32 v4, v150, v4
	v_mul_f32_e32 v150, 0xbf27a4f4, v152
	v_fmamk_f32 v152, v129, 0x3f4178ce, v150
	v_fmac_f32_e32 v150, 0xbf4178ce, v129
	v_add_f32_e32 v5, v152, v5
	v_mul_f32_e32 v152, 0x3f68dda4, v155
	v_mul_f32_e32 v155, 0xbe11bafb, v157
	v_fmamk_f32 v153, v134, 0x3ed4b147, v152
	v_add_f32_e32 v4, v153, v4
	v_mul_f32_e32 v153, 0x3ed4b147, v154
	v_fmamk_f32 v154, v135, 0xbf68dda4, v153
	v_fmac_f32_e32 v153, 0x3f68dda4, v135
	v_add_f32_e32 v5, v154, v5
	v_mul_f32_e32 v154, 0xbf7d64f0, v158
	v_fmamk_f32 v157, v138, 0xbe11bafb, v154
	v_add_f32_e32 v4, v157, v4
	v_fmamk_f32 v157, v139, 0x3f7d64f0, v155
	v_fmac_f32_e32 v155, 0xbf7d64f0, v139
	v_add_f32_e32 v5, v157, v5
	ds_write2_b64 v249, v[2:3], v[4:5] offset0:204 offset1:255
	v_fma_f32 v2, 0xbe11bafb, v84, -v172
	v_fma_f32 v4, 0x3f575c64, v128, -v146
	v_add_f32_e32 v3, v147, v140
	v_add_f32_e32 v5, v145, v130
	v_fma_f32 v130, 0xbf27a4f4, v128, -v144
	v_add_f32_e32 v2, v2, v141
	v_add_f32_e32 v3, v173, v3
	;; [unrolled: 1-line block ×4, first 2 shown]
	v_fma_f32 v4, 0xbf75a155, v134, -v174
	v_add_f32_e32 v3, v175, v3
	v_add_f32_e32 v5, v153, v5
	;; [unrolled: 1-line block ×3, first 2 shown]
	v_fma_f32 v4, 0x3ed4b147, v138, -v176
	v_add_f32_e32 v3, v177, v3
	v_add_f32_e32 v5, v155, v5
	;; [unrolled: 1-line block ×3, first 2 shown]
	v_fma_f32 v4, 0x3f575c64, v84, -v151
	v_add_f32_e32 v4, v4, v131
	v_add_f32_e32 v4, v130, v4
	v_fma_f32 v130, 0x3ed4b147, v134, -v152
	v_add_f32_e32 v4, v130, v4
	v_fma_f32 v130, 0xbe11bafb, v138, -v154
	v_add_f32_e32 v4, v130, v4
	ds_write2_b64 v11, v[4:5], v[2:3] offset0:50 offset1:101
	v_fma_f32 v2, 0xbf27a4f4, v84, -v160
	v_fma_f32 v4, 0xbf75a155, v128, -v156
	v_add_f32_e32 v3, v159, v82
	v_add_f32_e32 v5, v149, v80
	v_fma_f32 v80, 0x3ed4b147, v128, -v148
	v_add_f32_e32 v2, v2, v83
	v_add_f32_e32 v3, v161, v3
	;; [unrolled: 1-line block ×4, first 2 shown]
	v_fma_f32 v4, 0xbe11bafb, v134, -v162
	v_add_f32_e32 v3, v163, v3
	v_add_f32_e32 v5, v169, v5
	;; [unrolled: 1-line block ×3, first 2 shown]
	v_fma_f32 v4, 0x3f575c64, v138, -v164
	v_add_f32_e32 v3, v165, v3
	v_add_f32_e32 v5, v171, v5
	;; [unrolled: 1-line block ×3, first 2 shown]
	v_fma_f32 v4, 0xbf75a155, v84, -v166
	v_add_f32_e32 v4, v4, v81
	v_add_f32_e32 v4, v80, v4
	v_fma_f32 v80, 0x3f575c64, v134, -v168
	v_add_f32_e32 v4, v80, v4
	v_fma_f32 v80, 0xbf27a4f4, v138, -v170
	v_add_f32_e32 v4, v80, v4
	ds_write2_b64 v11, v[4:5], v[2:3] offset0:152 offset1:203
	v_fma_f32 v2, 0x3ed4b147, v84, -v86
	v_fma_f32 v4, 0xbe11bafb, v128, -v132
	v_add_f32_e32 v5, v79, v18
	v_add_f32_e32 v3, v87, v77
	;; [unrolled: 1-line block ×3, first 2 shown]
	v_sub_f32_e32 v76, v60, v51
	v_add_f32_e32 v5, v5, v61
	v_add_f32_e32 v3, v133, v3
	;; [unrolled: 1-line block ×3, first 2 shown]
	v_fma_f32 v4, 0xbf27a4f4, v134, -v136
	v_add_f32_e32 v5, v5, v60
	v_add_f32_e32 v3, v137, v3
	v_mul_f32_e32 v128, 0xbf0a6770, v76
	v_add_f32_e32 v2, v4, v2
	v_fma_f32 v4, 0xbf75a155, v138, -v142
	v_add_f32_e32 v5, v5, v43
	v_add_f32_e32 v3, v143, v3
	;; [unrolled: 1-line block ×5, first 2 shown]
	v_sub_f32_e32 v78, v43, v57
	v_add_f32_e32 v43, v43, v57
	v_add_f32_e32 v57, v42, v56
	;; [unrolled: 1-line block ×6, first 2 shown]
	v_mul_f32_e32 v79, 0xbf75a155, v43
	v_add_f32_e32 v4, v4, v58
	v_add_f32_e32 v5, v5, v55
	v_mul_f32_e32 v77, 0xbf27a4f4, v51
	v_mul_f32_e32 v129, 0x3f575c64, v51
	;; [unrolled: 1-line block ×3, first 2 shown]
	v_add_f32_e32 v4, v4, v42
	v_add_f32_e32 v5, v5, v49
	v_sub_f32_e32 v42, v42, v56
	v_mul_f32_e32 v131, 0xbf27a4f4, v43
	v_add_f32_e32 v4, v4, v56
	v_add_f32_e32 v5, v5, v53
	v_mul_f32_e32 v56, 0xbe903f40, v78
	v_add_f32_e32 v4, v4, v50
	v_sub_f32_e32 v50, v58, v50
	v_mul_f32_e32 v58, 0xbf4178ce, v76
	v_add_f32_e32 v4, v4, v54
	v_add_f32_e32 v4, v4, v48
	;; [unrolled: 1-line block ×3, first 2 shown]
	v_sub_f32_e32 v52, v18, v49
	v_add_f32_e32 v18, v18, v49
	v_add_f32_e32 v49, v36, v48
	v_sub_f32_e32 v36, v36, v48
	ds_write2_b64 v8, v[2:3], v[4:5] offset0:126 offset1:177
	v_mul_f32_e32 v48, 0xbf68dda4, v52
	v_mul_f32_e32 v53, 0x3ed4b147, v18
	;; [unrolled: 1-line block ×4, first 2 shown]
	v_fmamk_f32 v2, v49, 0x3ed4b147, v48
	v_fmamk_f32 v3, v36, 0x3f68dda4, v53
	v_fmac_f32_e32 v53, 0xbf68dda4, v36
	v_add_f32_e32 v2, v2, v75
	v_add_f32_e32 v3, v3, v74
	v_sub_f32_e32 v74, v61, v55
	v_add_f32_e32 v55, v61, v55
	v_add_f32_e32 v61, v59, v54
	v_sub_f32_e32 v54, v59, v54
	v_mul_f32_e32 v59, 0xbf7d64f0, v74
	v_mul_f32_e32 v75, 0xbe11bafb, v55
	;; [unrolled: 1-line block ×3, first 2 shown]
	v_fmamk_f32 v4, v61, 0xbe11bafb, v59
	v_add_f32_e32 v2, v4, v2
	v_fmamk_f32 v4, v54, 0x3f7d64f0, v75
	v_fmac_f32_e32 v75, 0xbf7d64f0, v54
	v_add_f32_e32 v3, v4, v3
	v_fmamk_f32 v4, v60, 0xbf27a4f4, v58
	v_add_f32_e32 v2, v4, v2
	v_fmamk_f32 v4, v50, 0x3f4178ce, v77
	v_fmac_f32_e32 v77, 0xbf4178ce, v50
	v_add_f32_e32 v3, v4, v3
	;; [unrolled: 5-line block ×3, first 2 shown]
	v_fmamk_f32 v4, v49, 0xbf27a4f4, v80
	v_add_f32_e32 v4, v4, v73
	v_mul_f32_e32 v73, 0xbf27a4f4, v18
	v_fmamk_f32 v5, v36, 0x3f4178ce, v73
	v_fmac_f32_e32 v73, 0xbf4178ce, v36
	v_add_f32_e32 v5, v5, v72
	v_mul_f32_e32 v72, 0x3e903f40, v74
	v_fmamk_f32 v81, v61, 0xbf75a155, v72
	v_add_f32_e32 v4, v81, v4
	v_mul_f32_e32 v81, 0xbf75a155, v55
	v_fmamk_f32 v82, v54, 0xbe903f40, v81
	v_fmac_f32_e32 v81, 0x3e903f40, v54
	v_add_f32_e32 v5, v82, v5
	v_mul_f32_e32 v82, 0x3f7d64f0, v76
	;; [unrolled: 7-line block ×4, first 2 shown]
	ds_write2_b64 v7, v[2:3], v[4:5] offset0:100 offset1:151
	v_fmamk_f32 v2, v49, 0xbf75a155, v86
	v_add_f32_e32 v2, v2, v71
	v_mul_f32_e32 v71, 0xbf75a155, v18
	v_fmamk_f32 v3, v36, 0xbe903f40, v71
	v_fmac_f32_e32 v71, 0x3e903f40, v36
	v_add_f32_e32 v3, v3, v70
	v_mul_f32_e32 v70, 0x3f68dda4, v74
	v_fmamk_f32 v4, v61, 0x3ed4b147, v70
	v_add_f32_e32 v2, v4, v2
	v_fmamk_f32 v4, v54, 0xbf68dda4, v87
	v_fmac_f32_e32 v87, 0x3f68dda4, v54
	v_add_f32_e32 v3, v4, v3
	v_fmamk_f32 v4, v60, 0x3f575c64, v128
	v_add_f32_e32 v2, v4, v2
	v_fmamk_f32 v4, v50, 0x3f0a6770, v129
	v_fmac_f32_e32 v129, 0xbf0a6770, v50
	v_add_f32_e32 v3, v4, v3
	;; [unrolled: 5-line block ×3, first 2 shown]
	v_fmamk_f32 v4, v49, 0xbe11bafb, v132
	v_add_f32_e32 v4, v4, v69
	v_mul_f32_e32 v69, 0xbe11bafb, v18
	v_fmamk_f32 v5, v36, 0xbf7d64f0, v69
	v_fmac_f32_e32 v69, 0x3f7d64f0, v36
	v_add_f32_e32 v5, v5, v68
	v_mul_f32_e32 v68, 0xbf0a6770, v74
	v_fmamk_f32 v133, v61, 0x3f575c64, v68
	v_add_f32_e32 v4, v133, v4
	v_mul_f32_e32 v133, 0x3f575c64, v55
	v_fmamk_f32 v134, v54, 0x3f0a6770, v133
	v_fmac_f32_e32 v133, 0xbf0a6770, v54
	v_add_f32_e32 v5, v134, v5
	v_mul_f32_e32 v134, 0xbe903f40, v76
	v_fmamk_f32 v135, v60, 0xbf75a155, v134
	v_add_f32_e32 v4, v135, v4
	v_mul_f32_e32 v135, 0xbf75a155, v51
	v_mul_f32_e32 v51, 0x3ed4b147, v51
	v_fmamk_f32 v136, v50, 0x3e903f40, v135
	v_fmac_f32_e32 v135, 0xbe903f40, v50
	v_add_f32_e32 v5, v136, v5
	v_mul_f32_e32 v136, 0x3f68dda4, v78
	v_fmamk_f32 v137, v57, 0x3ed4b147, v136
	v_add_f32_e32 v4, v137, v4
	v_mul_f32_e32 v137, 0x3ed4b147, v43
	v_mul_f32_e32 v43, 0xbe11bafb, v43
	v_fmamk_f32 v138, v42, 0xbf68dda4, v137
	v_fmac_f32_e32 v137, 0x3f68dda4, v42
	v_add_f32_e32 v5, v138, v5
	ds_write2_b64 v7, v[2:3], v[4:5] offset0:202 offset1:253
	v_mul_f32_e32 v4, 0x3f0a6770, v52
	v_mul_f32_e32 v5, 0x3f575c64, v18
	;; [unrolled: 1-line block ×3, first 2 shown]
	v_fmamk_f32 v2, v49, 0x3f575c64, v4
	v_fmamk_f32 v3, v36, 0xbf0a6770, v5
	;; [unrolled: 1-line block ×3, first 2 shown]
	v_fma_f32 v4, 0x3f575c64, v49, -v4
	v_fmac_f32_e32 v5, 0x3f0a6770, v36
	v_add_f32_e32 v2, v2, v67
	v_add_f32_e32 v3, v3, v66
	v_fma_f32 v18, 0xbf27a4f4, v61, -v18
	v_add_f32_e32 v4, v4, v65
	v_add_f32_e32 v5, v5, v64
	;; [unrolled: 1-line block ×3, first 2 shown]
	v_mul_f32_e32 v52, 0xbf27a4f4, v55
	v_add_f32_e32 v4, v18, v4
	v_fmamk_f32 v55, v54, 0x3f4178ce, v52
	v_fmac_f32_e32 v52, 0xbf4178ce, v54
	v_add_f32_e32 v3, v55, v3
	v_mul_f32_e32 v55, 0x3f68dda4, v76
	v_add_f32_e32 v5, v52, v5
	v_fmamk_f32 v66, v60, 0x3ed4b147, v55
	v_fma_f32 v18, 0x3ed4b147, v60, -v55
	v_add_f32_e32 v2, v66, v2
	v_fmamk_f32 v66, v50, 0xbf68dda4, v51
	v_fmac_f32_e32 v51, 0x3f68dda4, v50
	v_add_f32_e32 v4, v18, v4
	v_add_f32_e32 v3, v66, v3
	v_mul_f32_e32 v66, 0xbf7d64f0, v78
	v_add_f32_e32 v5, v51, v5
	v_fmamk_f32 v67, v57, 0xbe11bafb, v66
	v_fma_f32 v18, 0xbe11bafb, v57, -v66
	v_add_f32_e32 v2, v67, v2
	v_fmamk_f32 v67, v42, 0x3f7d64f0, v43
	v_fmac_f32_e32 v43, 0xbf7d64f0, v42
	v_add_f32_e32 v4, v18, v4
	v_fma_f32 v18, 0x3f575c64, v61, -v68
	v_add_f32_e32 v3, v67, v3
	v_add_f32_e32 v5, v43, v5
	ds_write2_b64 v10, v[2:3], v[4:5] offset0:48 offset1:99
	v_fma_f32 v2, 0xbf75a155, v49, -v86
	v_fma_f32 v4, 0x3ed4b147, v61, -v70
	v_add_f32_e32 v3, v71, v62
	v_add_f32_e32 v5, v69, v38
	;; [unrolled: 1-line block ×6, first 2 shown]
	v_fma_f32 v4, 0x3f575c64, v60, -v128
	v_add_f32_e32 v3, v129, v3
	v_add_f32_e32 v5, v135, v5
	;; [unrolled: 1-line block ×3, first 2 shown]
	v_fma_f32 v4, 0xbf27a4f4, v57, -v130
	v_add_f32_e32 v3, v131, v3
	v_add_f32_e32 v5, v137, v5
	v_add_f32_e32 v2, v4, v2
	v_fma_f32 v4, 0xbe11bafb, v49, -v132
	v_add_f32_e32 v4, v4, v39
	v_add_f32_e32 v4, v18, v4
	v_fma_f32 v18, 0xbf75a155, v60, -v134
	v_add_f32_e32 v4, v18, v4
	v_fma_f32 v18, 0x3ed4b147, v57, -v136
	v_add_f32_e32 v4, v18, v4
	v_add_f32_e32 v18, v30, v13
	ds_write2_b64 v10, v[4:5], v[2:3] offset0:150 offset1:201
	v_fma_f32 v2, 0x3ed4b147, v49, -v48
	v_fma_f32 v4, 0xbe11bafb, v61, -v59
	v_add_f32_e32 v3, v53, v19
	v_add_f32_e32 v5, v73, v17
	;; [unrolled: 1-line block ×4, first 2 shown]
	v_sub_f32_e32 v19, v29, v20
	v_add_f32_e32 v3, v75, v3
	v_add_f32_e32 v5, v81, v5
	v_mul_f32_e32 v51, 0x3ed4b147, v17
	v_add_f32_e32 v2, v4, v2
	v_fma_f32 v4, 0xbf27a4f4, v60, -v58
	v_add_f32_e32 v3, v77, v3
	v_add_f32_e32 v5, v83, v5
	v_mul_f32_e32 v50, 0xbf4178ce, v19
	v_mul_f32_e32 v70, 0xbf27a4f4, v17
	v_add_f32_e32 v2, v4, v2
	v_fma_f32 v4, 0xbf75a155, v57, -v56
	v_add_f32_e32 v3, v79, v3
	v_add_f32_e32 v5, v85, v5
	;; [unrolled: 1-line block ×3, first 2 shown]
	v_fma_f32 v4, 0xbf27a4f4, v49, -v80
	v_add_f32_e32 v4, v4, v16
	v_fma_f32 v16, 0xbf75a155, v61, -v72
	v_mul_f32_e32 v61, 0xbe11bafb, v17
	v_add_f32_e32 v4, v16, v4
	v_fma_f32 v16, 0xbe11bafb, v60, -v82
	v_mul_f32_e32 v60, 0x3e903f40, v19
	v_add_f32_e32 v4, v16, v4
	v_fma_f32 v16, 0x3f575c64, v57, -v84
	v_add_f32_e32 v4, v16, v4
	v_sub_f32_e32 v16, v31, v21
	ds_write2_b64 v22, v[4:5], v[2:3] offset0:124 offset1:175
	v_add_f32_e32 v2, v1, v31
	v_add_f32_e32 v3, v0, v30
	v_mul_f32_e32 v49, 0xbf68dda4, v16
	v_mul_f32_e32 v59, 0xbf7d64f0, v16
	v_add_f32_e32 v2, v2, v29
	v_add_f32_e32 v3, v3, v28
	;; [unrolled: 1-line block ×17, first 2 shown]
	v_mul_f32_e32 v29, 0xbf68dda4, v19
	v_add_f32_e32 v3, v2, v21
	v_add_f32_e32 v21, v28, v14
	v_sub_f32_e32 v14, v28, v14
	v_mul_f32_e32 v28, 0xbf0a6770, v16
	v_add_f32_e32 v2, v4, v13
	v_sub_f32_e32 v13, v30, v13
	v_fmamk_f32 v5, v21, 0x3ed4b147, v29
	v_mul_f32_e32 v30, 0x3f575c64, v17
	v_fmamk_f32 v4, v18, 0x3f575c64, v28
	v_mul_f32_e32 v31, 0x3ed4b147, v20
	v_mul_f32_e32 v52, 0xbf27a4f4, v20
	;; [unrolled: 1-line block ×4, first 2 shown]
	v_add_f32_e32 v4, v0, v4
	v_fmamk_f32 v36, v14, 0x3f68dda4, v31
	v_mul_f32_e32 v17, 0xbf75a155, v17
	v_fmamk_f32 v63, v14, 0xbe903f40, v62
	v_mul_f32_e32 v20, 0x3f575c64, v20
	v_add_f32_e32 v4, v5, v4
	v_fmamk_f32 v5, v13, 0x3f0a6770, v30
	v_fmac_f32_e32 v62, 0x3e903f40, v14
	v_fmac_f32_e32 v30, 0xbf0a6770, v13
	v_fmamk_f32 v78, v14, 0xbf0a6770, v20
	v_fmac_f32_e32 v20, 0x3f0a6770, v14
	v_add_f32_e32 v5, v1, v5
	v_fmac_f32_e32 v31, 0xbf68dda4, v14
	v_add_f32_e32 v5, v36, v5
	v_sub_f32_e32 v36, v35, v25
	v_add_f32_e32 v25, v35, v25
	v_add_f32_e32 v35, v34, v24
	v_sub_f32_e32 v24, v34, v24
	v_mul_f32_e32 v34, 0xbf7d64f0, v36
	v_mul_f32_e32 v53, 0x3e903f40, v36
	v_mul_f32_e32 v54, 0xbf75a155, v25
	v_mul_f32_e32 v72, 0xbf0a6770, v36
	v_mul_f32_e32 v73, 0x3f575c64, v25
	v_fmamk_f32 v37, v35, 0xbe11bafb, v34
	v_add_f32_e32 v4, v37, v4
	v_mul_f32_e32 v37, 0xbe11bafb, v25
	v_fmamk_f32 v38, v24, 0x3f7d64f0, v37
	v_fmac_f32_e32 v37, 0xbf7d64f0, v24
	v_add_f32_e32 v5, v38, v5
	v_sub_f32_e32 v38, v33, v23
	v_add_f32_e32 v23, v33, v23
	v_add_f32_e32 v33, v32, v15
	v_sub_f32_e32 v15, v32, v15
	v_mul_f32_e32 v32, 0xbf4178ce, v38
	v_mul_f32_e32 v55, 0x3f7d64f0, v38
	v_mul_f32_e32 v56, 0xbe11bafb, v23
	v_mul_f32_e32 v74, 0xbe903f40, v38
	v_mul_f32_e32 v75, 0xbf75a155, v23
	v_fmamk_f32 v39, v33, 0xbf27a4f4, v32
	v_add_f32_e32 v4, v39, v4
	v_mul_f32_e32 v39, 0xbf27a4f4, v23
	v_fmamk_f32 v42, v15, 0x3f4178ce, v39
	v_fmac_f32_e32 v39, 0xbf4178ce, v15
	v_add_f32_e32 v5, v42, v5
	v_sub_f32_e32 v42, v41, v40
	v_add_f32_e32 v40, v41, v40
	v_add_f32_e32 v41, v27, v26
	v_sub_f32_e32 v26, v27, v26
	v_mul_f32_e32 v27, 0xbe903f40, v42
	v_mul_f32_e32 v57, 0x3f0a6770, v42
	v_mul_f32_e32 v58, 0x3f575c64, v40
	v_mul_f32_e32 v76, 0x3f68dda4, v42
	v_mul_f32_e32 v77, 0x3ed4b147, v40
	v_fmamk_f32 v43, v41, 0xbf75a155, v27
	v_add_f32_e32 v4, v43, v4
	v_mul_f32_e32 v43, 0xbf75a155, v40
	v_fmamk_f32 v48, v26, 0x3e903f40, v43
	v_fmac_f32_e32 v43, 0xbe903f40, v26
	v_add_f32_e32 v5, v48, v5
	s_waitcnt vmcnt(0)
	v_add_nc_u32_e32 v48, 0x2000, v44
	ds_write2_b64 v48, v[2:3], v[4:5] offset0:98 offset1:149
	v_fmamk_f32 v2, v18, 0x3ed4b147, v49
	v_fmamk_f32 v3, v21, 0xbf27a4f4, v50
	;; [unrolled: 1-line block ×4, first 2 shown]
	v_fmac_f32_e32 v52, 0xbf4178ce, v14
	v_add_f32_e32 v2, v0, v2
	v_add_f32_e32 v2, v3, v2
	v_fmamk_f32 v3, v13, 0x3f68dda4, v51
	v_fmac_f32_e32 v51, 0xbf68dda4, v13
	v_add_f32_e32 v3, v1, v3
	v_add_f32_e32 v3, v4, v3
	v_fmamk_f32 v4, v35, 0xbf75a155, v53
	v_add_f32_e32 v2, v4, v2
	v_fmamk_f32 v4, v24, 0xbe903f40, v54
	v_fmac_f32_e32 v54, 0x3e903f40, v24
	v_add_f32_e32 v3, v4, v3
	v_fmamk_f32 v4, v33, 0xbe11bafb, v55
	v_add_f32_e32 v2, v4, v2
	v_fmamk_f32 v4, v15, 0xbf7d64f0, v56
	v_fmac_f32_e32 v56, 0x3f7d64f0, v15
	;; [unrolled: 5-line block ×3, first 2 shown]
	v_add_f32_e32 v3, v4, v3
	v_fmamk_f32 v4, v18, 0xbe11bafb, v59
	v_add_f32_e32 v4, v0, v4
	v_add_f32_e32 v4, v5, v4
	v_fmamk_f32 v5, v13, 0x3f7d64f0, v61
	v_fmac_f32_e32 v61, 0xbf7d64f0, v13
	v_add_f32_e32 v5, v1, v5
	v_add_f32_e32 v5, v63, v5
	v_mul_f32_e32 v63, 0x3f68dda4, v36
	v_mul_f32_e32 v36, 0xbf4178ce, v36
	v_fmamk_f32 v64, v35, 0x3ed4b147, v63
	v_add_f32_e32 v4, v64, v4
	v_mul_f32_e32 v64, 0x3ed4b147, v25
	v_mul_f32_e32 v25, 0xbf27a4f4, v25
	v_fmamk_f32 v65, v24, 0xbf68dda4, v64
	v_fmac_f32_e32 v64, 0x3f68dda4, v24
	v_add_f32_e32 v5, v65, v5
	v_mul_f32_e32 v65, 0xbf0a6770, v38
	v_mul_f32_e32 v38, 0x3f68dda4, v38
	v_fmamk_f32 v66, v33, 0x3f575c64, v65
	v_add_f32_e32 v4, v66, v4
	v_mul_f32_e32 v66, 0x3f575c64, v23
	v_mul_f32_e32 v23, 0x3ed4b147, v23
	v_fmamk_f32 v67, v15, 0x3f0a6770, v66
	v_fmac_f32_e32 v66, 0xbf0a6770, v15
	;; [unrolled: 9-line block ×3, first 2 shown]
	v_add_f32_e32 v5, v69, v5
	v_mul_f32_e32 v69, 0x3f7d64f0, v19
	v_mul_f32_e32 v19, 0x3f0a6770, v19
	ds_write2_b64 v48, v[2:3], v[4:5] offset0:200 offset1:251
	v_mul_f32_e32 v48, 0xbf4178ce, v16
	v_fmamk_f32 v3, v21, 0xbe11bafb, v69
	v_fmamk_f32 v4, v14, 0xbf7d64f0, v71
	v_mul_f32_e32 v16, 0xbe903f40, v16
	v_fmamk_f32 v5, v21, 0x3f575c64, v19
	v_fmamk_f32 v2, v18, 0xbf27a4f4, v48
	v_fmac_f32_e32 v71, 0x3f7d64f0, v14
	v_add_f32_e32 v2, v0, v2
	v_add_f32_e32 v2, v3, v2
	v_fmamk_f32 v3, v13, 0x3f4178ce, v70
	v_fmac_f32_e32 v70, 0xbf4178ce, v13
	v_add_f32_e32 v3, v1, v3
	v_add_f32_e32 v3, v4, v3
	v_fmamk_f32 v4, v35, 0x3f575c64, v72
	v_add_f32_e32 v2, v4, v2
	v_fmamk_f32 v4, v24, 0x3f0a6770, v73
	v_fmac_f32_e32 v73, 0xbf0a6770, v24
	v_add_f32_e32 v3, v4, v3
	v_fmamk_f32 v4, v33, 0xbf75a155, v74
	v_add_f32_e32 v2, v4, v2
	v_fmamk_f32 v4, v15, 0x3e903f40, v75
	v_fmac_f32_e32 v75, 0xbe903f40, v15
	;; [unrolled: 5-line block ×3, first 2 shown]
	v_add_f32_e32 v3, v4, v3
	v_fmamk_f32 v4, v18, 0xbf75a155, v16
	v_add_f32_e32 v4, v0, v4
	v_add_f32_e32 v4, v5, v4
	v_fmamk_f32 v5, v13, 0x3e903f40, v17
	v_fmac_f32_e32 v17, 0xbe903f40, v13
	v_add_f32_e32 v5, v1, v5
	v_add_f32_e32 v5, v78, v5
	v_fmamk_f32 v78, v35, 0xbf27a4f4, v36
	v_add_f32_e32 v4, v78, v4
	v_fmamk_f32 v78, v24, 0x3f4178ce, v25
	v_fmac_f32_e32 v25, 0xbf4178ce, v24
	v_add_f32_e32 v5, v78, v5
	v_fmamk_f32 v78, v33, 0x3ed4b147, v38
	v_add_f32_e32 v4, v78, v4
	v_fmamk_f32 v78, v15, 0xbf68dda4, v23
	v_fmac_f32_e32 v23, 0x3f68dda4, v15
	;; [unrolled: 5-line block ×3, first 2 shown]
	v_add_f32_e32 v5, v78, v5
	v_add_nc_u32_e32 v78, 0x2800, v44
	ds_write2_b64 v78, v[2:3], v[4:5] offset0:46 offset1:97
	v_fma_f32 v2, 0xbf27a4f4, v18, -v48
	v_fma_f32 v3, 0xbe11bafb, v21, -v69
	;; [unrolled: 1-line block ×4, first 2 shown]
	v_add_f32_e32 v2, v0, v2
	v_add_f32_e32 v2, v3, v2
	;; [unrolled: 1-line block ×4, first 2 shown]
	v_fma_f32 v4, 0xbf75a155, v33, -v74
	v_add_f32_e32 v3, v71, v3
	v_add_f32_e32 v2, v4, v2
	v_fma_f32 v4, 0x3ed4b147, v41, -v76
	v_add_f32_e32 v3, v73, v3
	v_add_f32_e32 v2, v4, v2
	v_fma_f32 v4, 0xbf75a155, v18, -v16
	v_fma_f32 v16, 0xbf27a4f4, v35, -v36
	v_add_f32_e32 v3, v75, v3
	v_add_f32_e32 v4, v0, v4
	;; [unrolled: 1-line block ×7, first 2 shown]
	v_fma_f32 v16, 0x3ed4b147, v33, -v38
	v_add_f32_e32 v5, v25, v5
	v_add_f32_e32 v4, v16, v4
	v_fma_f32 v16, 0xbe11bafb, v41, -v42
	v_add_f32_e32 v5, v23, v5
	v_add_f32_e32 v4, v16, v4
	v_fma_f32 v16, 0x3ed4b147, v35, -v63
	v_add_f32_e32 v5, v40, v5
	ds_write2_b64 v78, v[4:5], v[2:3] offset0:148 offset1:199
	v_fma_f32 v2, 0x3ed4b147, v18, -v49
	v_fma_f32 v3, 0xbf27a4f4, v21, -v50
	v_fma_f32 v4, 0xbf75a155, v35, -v53
	v_fma_f32 v5, 0xbf75a155, v21, -v60
	v_add_f32_e32 v2, v0, v2
	v_add_f32_e32 v2, v3, v2
	;; [unrolled: 1-line block ×4, first 2 shown]
	v_fma_f32 v4, 0xbe11bafb, v33, -v55
	v_add_f32_e32 v3, v52, v3
	v_add_f32_e32 v2, v4, v2
	v_fma_f32 v4, 0x3f575c64, v41, -v57
	v_add_f32_e32 v3, v54, v3
	v_add_f32_e32 v2, v4, v2
	;; [unrolled: 3-line block ×3, first 2 shown]
	v_add_f32_e32 v3, v58, v3
	v_add_f32_e32 v4, v5, v4
	;; [unrolled: 1-line block ×6, first 2 shown]
	v_fma_f32 v16, 0x3f575c64, v33, -v65
	v_add_f32_e32 v1, v31, v1
	v_add_f32_e32 v5, v64, v5
	;; [unrolled: 1-line block ×3, first 2 shown]
	v_fma_f32 v16, 0xbf27a4f4, v41, -v67
	v_add_f32_e32 v1, v37, v1
	v_add_f32_e32 v5, v66, v5
	;; [unrolled: 1-line block ×3, first 2 shown]
	v_add_nc_u32_e32 v16, 0x2c00, v44
	v_add_f32_e32 v1, v39, v1
	v_add_f32_e32 v5, v68, v5
	;; [unrolled: 1-line block ×3, first 2 shown]
	ds_write2_b64 v16, v[4:5], v[2:3] offset0:122 offset1:173
	v_fma_f32 v2, 0x3f575c64, v18, -v28
	v_add_f32_e32 v0, v0, v2
	v_fma_f32 v2, 0x3ed4b147, v21, -v29
	v_add_f32_e32 v0, v2, v0
	;; [unrolled: 2-line block ×5, first 2 shown]
	ds_write_b64 v44, v[0:1] offset:13056
	s_waitcnt lgkmcnt(0)
	s_barrier
	buffer_gl0_inv
	ds_read_b64 v[0:1], v249 offset:13056
	s_waitcnt lgkmcnt(0)
	v_mul_f32_e32 v4, v127, v1
	v_fmac_f32_e32 v4, v126, v0
	v_mul_f32_e32 v0, v127, v0
	v_fma_f32 v13, v126, v1, -v0
	ds_read2_b64 v[0:3], v22 offset0:124 offset1:175
	s_waitcnt lgkmcnt(0)
	v_mul_f32_e32 v5, v125, v3
	v_mul_f32_e32 v15, v121, v1
	v_fmac_f32_e32 v5, v124, v2
	v_mul_f32_e32 v2, v125, v2
	v_fmac_f32_e32 v15, v120, v0
	v_mul_f32_e32 v0, v121, v0
	v_fma_f32 v14, v124, v3, -v2
	v_fma_f32 v17, v120, v1, -v0
	ds_read2_b64 v[0:3], v12 offset0:122 offset1:173
	s_waitcnt lgkmcnt(0)
	v_mul_f32_e32 v16, v123, v3
	v_mul_f32_e32 v19, v119, v1
	v_fmac_f32_e32 v16, v122, v2
	v_mul_f32_e32 v2, v123, v2
	v_fmac_f32_e32 v19, v118, v0
	v_mul_f32_e32 v0, v119, v0
	v_fma_f32 v18, v122, v3, -v2
	;; [unrolled: 10-line block ×4, first 2 shown]
	v_fma_f32 v51, v110, v1, -v0
	ds_read2_b64 v[0:3], v10 offset0:48 offset1:99
	v_sub_f32_e32 v45, v49, v25
	s_waitcnt lgkmcnt(0)
	v_mul_f32_e32 v52, v109, v3
	v_mul_f32_e32 v41, v105, v1
	v_fmac_f32_e32 v52, v108, v2
	v_mul_f32_e32 v2, v109, v2
	v_fmac_f32_e32 v41, v104, v0
	v_mul_f32_e32 v0, v105, v0
	v_fma_f32 v53, v108, v3, -v2
	v_fma_f32 v40, v104, v1, -v0
	ds_read2_b64 v[0:3], v9 offset0:46 offset1:97
	s_waitcnt lgkmcnt(0)
	v_mul_f32_e32 v54, v107, v3
	v_mul_f32_e32 v56, v103, v1
	v_fmac_f32_e32 v54, v106, v2
	v_mul_f32_e32 v2, v107, v2
	v_fmac_f32_e32 v56, v102, v0
	v_mul_f32_e32 v0, v103, v0
	v_fma_f32 v55, v106, v3, -v2
	v_fma_f32 v57, v102, v1, -v0
	ds_read2_b64 v[0:3], v7 offset0:202 offset1:253
	;; [unrolled: 10-line block ×5, first 2 shown]
	s_clause 0x3
	buffer_load_dword v26, off, s[20:23], 0 offset:300
	buffer_load_dword v27, off, s[20:23], 0 offset:304
	;; [unrolled: 1-line block ×4, first 2 shown]
	s_waitcnt lgkmcnt(0)
	v_mul_f32_e32 v62, v91, v3
	v_fmac_f32_e32 v62, v90, v2
	v_mul_f32_e32 v2, v91, v2
	v_fma_f32 v63, v90, v3, -v2
	s_waitcnt vmcnt(0)
	v_mul_f32_e32 v64, v29, v1
	v_fmac_f32_e32 v64, v28, v0
	v_mul_f32_e32 v0, v29, v0
	v_fma_f32 v46, v28, v1, -v0
	ds_read2_b64 v[0:3], v8 offset0:126 offset1:177
	s_waitcnt lgkmcnt(0)
	v_mul_f32_e32 v34, v27, v3
	v_fmac_f32_e32 v34, v26, v2
	v_mul_f32_e32 v2, v27, v2
	v_sub_f32_e32 v44, v34, v64
	v_fma_f32 v35, v26, v3, -v2
	ds_read2_b64 v[26:29], v249 offset1:51
	v_add_f32_e32 v2, v34, v64
	v_add_f32_e32 v3, v35, v46
	v_sub_f32_e32 v31, v35, v46
	s_waitcnt lgkmcnt(0)
	v_fma_f32 v2, -0.5, v2, v26
	v_fma_f32 v3, -0.5, v3, v27
	v_add_f32_e32 v47, v28, v33
	v_add_f32_e32 v65, v29, v32
	v_add_f32_e32 v66, v26, v34
	v_fmamk_f32 v30, v31, 0xbf5db3d7, v2
	v_fmac_f32_e32 v2, 0x3f5db3d7, v31
	v_fmamk_f32 v31, v44, 0x3f5db3d7, v3
	v_fmac_f32_e32 v3, 0xbf5db3d7, v44
	v_add_f32_e32 v44, v33, v62
	v_add_f32_e32 v67, v27, v35
	v_sub_f32_e32 v35, v39, v61
	v_fma_f32 v28, -0.5, v44, v28
	v_add_f32_e32 v44, v32, v63
	v_fmac_f32_e32 v29, -0.5, v44
	v_sub_f32_e32 v44, v32, v63
	v_fmamk_f32 v32, v44, 0xbf5db3d7, v28
	v_fmac_f32_e32 v28, 0x3f5db3d7, v44
	v_sub_f32_e32 v44, v33, v62
	v_fmamk_f32 v33, v44, 0x3f5db3d7, v29
	v_fmac_f32_e32 v29, 0xbf5db3d7, v44
	v_sub_f32_e32 v44, v38, v60
	ds_write2_b64 v6, v[2:3], v[28:29] offset0:98 offset1:149
	ds_read2_b64 v[26:29], v249 offset0:102 offset1:153
	v_add_f32_e32 v2, v38, v60
	v_add_f32_e32 v3, v39, v61
	s_waitcnt lgkmcnt(0)
	v_fma_f32 v2, -0.5, v2, v26
	v_fma_f32 v3, -0.5, v3, v27
	v_add_f32_e32 v68, v28, v37
	v_add_f32_e32 v69, v29, v36
	v_add_f32_e32 v70, v26, v38
	v_fmamk_f32 v34, v35, 0xbf5db3d7, v2
	v_fmac_f32_e32 v2, 0x3f5db3d7, v35
	v_fmamk_f32 v35, v44, 0x3f5db3d7, v3
	v_fmac_f32_e32 v3, 0xbf5db3d7, v44
	v_add_f32_e32 v44, v37, v58
	v_add_f32_e32 v71, v27, v39
	v_sub_f32_e32 v39, v43, v57
	v_fma_f32 v28, -0.5, v44, v28
	v_add_f32_e32 v44, v36, v59
	v_fmac_f32_e32 v29, -0.5, v44
	v_sub_f32_e32 v44, v36, v59
	v_fmamk_f32 v36, v44, 0xbf5db3d7, v28
	v_fmac_f32_e32 v28, 0x3f5db3d7, v44
	v_sub_f32_e32 v44, v37, v58
	v_fmamk_f32 v37, v44, 0x3f5db3d7, v29
	v_fmac_f32_e32 v29, 0xbf5db3d7, v44
	v_sub_f32_e32 v44, v42, v56
	ds_write2_b64 v6, v[2:3], v[28:29] offset0:200 offset1:251
	ds_read2_b64 v[26:29], v249 offset0:204 offset1:255
	v_add_f32_e32 v2, v42, v56
	v_add_f32_e32 v3, v43, v57
	;; [unrolled: 27-line block ×3, first 2 shown]
	s_waitcnt lgkmcnt(0)
	v_fma_f32 v2, -0.5, v2, v26
	v_fma_f32 v3, -0.5, v3, v27
	v_add_f32_e32 v76, v28, v48
	v_add_f32_e32 v77, v29, v49
	v_fmamk_f32 v42, v43, 0xbf5db3d7, v2
	v_fmac_f32_e32 v2, 0x3f5db3d7, v43
	v_fmamk_f32 v43, v44, 0x3f5db3d7, v3
	v_fmac_f32_e32 v3, 0xbf5db3d7, v44
	v_add_f32_e32 v44, v48, v24
	v_sub_f32_e32 v48, v48, v24
	v_add_f32_e32 v24, v76, v24
	v_fma_f32 v28, -0.5, v44, v28
	v_add_f32_e32 v44, v49, v25
	v_add_f32_e32 v25, v77, v25
	v_fmac_f32_e32 v29, -0.5, v44
	v_fmamk_f32 v44, v45, 0xbf5db3d7, v28
	v_fmac_f32_e32 v28, 0x3f5db3d7, v45
	v_fmamk_f32 v45, v48, 0x3f5db3d7, v29
	v_fmac_f32_e32 v29, 0xbf5db3d7, v48
	ds_write2_b64 v9, v[2:3], v[28:29] offset0:148 offset1:199
	v_add_f32_e32 v28, v26, v52
	v_add_f32_e32 v29, v27, v53
	;; [unrolled: 1-line block ×6, first 2 shown]
	ds_write2_b64 v249, v[2:3], v[26:27] offset1:51
	ds_write2_b64 v7, v[32:33], v[34:35] offset0:100 offset1:151
	v_add_f32_e32 v2, v70, v60
	v_add_f32_e32 v3, v71, v61
	;; [unrolled: 1-line block ×4, first 2 shown]
	ds_write2_b64 v249, v[2:3], v[26:27] offset0:102 offset1:153
	ds_write2_b64 v7, v[36:37], v[38:39] offset0:202 offset1:253
	v_add_f32_e32 v2, v74, v56
	v_add_f32_e32 v3, v75, v57
	;; [unrolled: 1-line block ×4, first 2 shown]
	ds_write2_b64 v249, v[2:3], v[26:27] offset0:204 offset1:255
	ds_write2_b64 v10, v[40:41], v[42:43] offset0:48 offset1:99
	v_add_f32_e32 v2, v28, v50
	v_add_f32_e32 v3, v29, v51
	ds_read2_b64 v[26:29], v11 offset0:152 offset1:203
	v_add_f32_e32 v32, v21, v19
	v_add_f32_e32 v33, v23, v20
	ds_write2_b64 v11, v[2:3], v[24:25] offset0:50 offset1:101
	s_waitcnt lgkmcnt(1)
	v_fma_f32 v2, -0.5, v32, v26
	v_fma_f32 v3, -0.5, v33, v27
	v_sub_f32_e32 v32, v23, v20
	v_sub_f32_e32 v33, v21, v19
	v_add_f32_e32 v21, v26, v21
	v_add_f32_e32 v23, v27, v23
	v_fmamk_f32 v24, v32, 0xbf5db3d7, v2
	v_fmamk_f32 v25, v33, 0x3f5db3d7, v3
	v_add_f32_e32 v19, v21, v19
	v_add_f32_e32 v21, v15, v16
	;; [unrolled: 1-line block ×4, first 2 shown]
	ds_write2_b64 v10, v[44:45], v[24:25] offset0:150 offset1:201
	v_add_f32_e32 v24, v28, v15
	v_fma_f32 v28, -0.5, v21, v28
	v_sub_f32_e32 v21, v17, v18
	v_add_f32_e32 v25, v17, v18
	v_add_f32_e32 v18, v23, v18
	v_add_f32_e32 v17, v24, v16
	v_sub_f32_e32 v23, v15, v16
	v_fmamk_f32 v15, v21, 0xbf5db3d7, v28
	v_add_f32_e32 v16, v5, v4
	v_add_f32_e32 v24, v14, v13
	v_fmac_f32_e32 v28, 0x3f5db3d7, v21
	v_add_f32_e32 v21, v1, v14
	v_fmac_f32_e32 v29, -0.5, v25
	v_add_f32_e32 v25, v0, v5
	v_fma_f32 v0, -0.5, v16, v0
	v_fmac_f32_e32 v1, -0.5, v24
	v_sub_f32_e32 v24, v14, v13
	v_add_f32_e32 v14, v21, v13
	v_sub_f32_e32 v21, v5, v4
	v_fmac_f32_e32 v2, 0x3f5db3d7, v32
	v_fmac_f32_e32 v3, 0xbf5db3d7, v33
	v_fmamk_f32 v16, v23, 0x3f5db3d7, v29
	v_fmac_f32_e32 v29, 0xbf5db3d7, v23
	v_add_f32_e32 v13, v25, v4
	v_fmamk_f32 v4, v24, 0xbf5db3d7, v0
	v_fmamk_f32 v5, v21, 0x3f5db3d7, v1
	v_fmac_f32_e32 v0, 0x3f5db3d7, v24
	v_fmac_f32_e32 v1, 0xbf5db3d7, v21
	ds_write2_b64 v11, v[19:20], v[17:18] offset0:152 offset1:203
	ds_write2_b64 v12, v[2:3], v[28:29] offset0:122 offset1:173
	;; [unrolled: 1-line block ×4, first 2 shown]
	ds_write_b64 v249, v[0:1] offset:13056
	s_waitcnt lgkmcnt(0)
	s_barrier
	buffer_gl0_inv
	ds_read2_b64 v[0:3], v249 offset1:99
	s_clause 0x3
	buffer_load_dword v13, off, s[20:23], 0 offset:104
	buffer_load_dword v14, off, s[20:23], 0 offset:108
	;; [unrolled: 1-line block ×4, first 2 shown]
	v_mad_u64_u32 v[25:26], null, s8, v244, 0
	s_waitcnt vmcnt(2) lgkmcnt(0)
	v_mul_f32_e32 v4, v14, v1
	v_mul_f32_e32 v5, v14, v0
	s_waitcnt vmcnt(0)
	v_mul_f32_e32 v19, v32, v3
	v_fmac_f32_e32 v4, v13, v0
	v_fma_f32 v5, v13, v1, -v5
	s_clause 0x1
	buffer_load_dword v13, off, s[20:23], 0 offset:48
	buffer_load_dword v14, off, s[20:23], 0 offset:52
	v_fmac_f32_e32 v19, v31, v2
	v_mul_f32_e32 v2, v32, v2
	v_cvt_f64_f32_e32 v[0:1], v4
	v_cvt_f64_f32_e32 v[4:5], v5
	;; [unrolled: 1-line block ×3, first 2 shown]
	v_mul_f64 v[0:1], v[0:1], s[2:3]
	v_mul_f64 v[17:18], v[4:5], s[2:3]
	v_add_nc_u32_e32 v4, 0x400, v249
	v_cvt_f32_f64_e32 v0, v[0:1]
	v_cvt_f32_f64_e32 v1, v[17:18]
	s_waitcnt vmcnt(1)
	v_mov_b32_e32 v20, v13
	s_waitcnt vmcnt(0)
	ds_read2_b64 v[13:16], v4 offset0:70 offset1:169
	v_mad_u64_u32 v[23:24], null, s10, v20, 0
	v_mov_b32_e32 v5, v24
	v_mad_u64_u32 v[19:20], null, s11, v20, v[5:6]
	v_mov_b32_e32 v5, v26
	;; [unrolled: 2-line block ×3, first 2 shown]
	ds_read2_b64 v[17:20], v11 offset0:140 offset1:239
	v_fma_f32 v5, v31, v3, -v2
	v_lshlrev_b64 v[2:3], 3, v[23:24]
	v_mov_b32_e32 v26, v29
	s_clause 0x5
	buffer_load_dword v29, off, s[20:23], 0 offset:64
	buffer_load_dword v30, off, s[20:23], 0 offset:68
	;; [unrolled: 1-line block ×6, first 2 shown]
	v_mul_f64 v[23:24], v[27:28], s[2:3]
	v_cvt_f64_f32_e32 v[27:28], v5
	v_lshlrev_b64 v[25:26], 3, v[25:26]
	v_add_co_u32 v2, s0, s14, v2
	v_add_co_ci_u32_e64 v3, s0, s15, v3, s0
	v_add_co_u32 v25, s0, v2, v25
	v_add_co_ci_u32_e64 v26, s0, v3, v26, s0
	s_mul_i32 s0, s9, 0x63
	s_add_i32 s1, s1, s0
	s_mul_i32 s0, s8, 0x63
	s_lshl_b64 s[4:5], s[0:1], 3
	v_add_co_u32 v45, s0, v25, s4
	v_add_co_ci_u32_e64 v46, s0, s5, v26, s0
	v_cvt_f32_f64_e32 v23, v[23:24]
	s_waitcnt vmcnt(4) lgkmcnt(1)
	v_mul_f32_e32 v11, v30, v14
	v_mul_f32_e32 v21, v30, v13
	v_fmac_f32_e32 v11, v29, v13
	s_waitcnt vmcnt(2)
	v_mul_f32_e32 v13, v34, v16
	v_fma_f32 v5, v29, v14, -v21
	v_mul_f32_e32 v14, v34, v15
	v_cvt_f64_f32_e32 v[29:30], v11
	v_fmac_f32_e32 v13, v33, v15
	v_cvt_f64_f32_e32 v[31:32], v5
	v_fma_f32 v11, v33, v16, -v14
	s_waitcnt vmcnt(0) lgkmcnt(0)
	v_mul_f32_e32 v5, v40, v18
	v_cvt_f64_f32_e32 v[33:34], v13
	ds_read2_b64 v[13:16], v7 offset0:82 offset1:181
	s_clause 0x1
	buffer_load_dword v41, off, s[20:23], 0 offset:120
	buffer_load_dword v42, off, s[20:23], 0 offset:124
	v_fmac_f32_e32 v5, v39, v17
	v_cvt_f64_f32_e32 v[35:36], v11
	v_mul_f32_e32 v11, v40, v17
	v_cvt_f64_f32_e32 v[37:38], v5
	v_fma_f32 v5, v39, v18, -v11
	v_mul_f64 v[17:18], v[27:28], s[2:3]
	v_cvt_f64_f32_e32 v[27:28], v5
	v_mul_f64 v[29:30], v[29:30], s[2:3]
	v_mul_f64 v[31:32], v[31:32], s[2:3]
	;; [unrolled: 1-line block ×3, first 2 shown]
	v_cvt_f32_f64_e32 v24, v[17:18]
	v_mul_f64 v[27:28], v[27:28], s[2:3]
	v_cvt_f32_f64_e32 v29, v[29:30]
	v_cvt_f32_f64_e32 v30, v[31:32]
	;; [unrolled: 1-line block ×3, first 2 shown]
	s_waitcnt vmcnt(0)
	v_mul_f32_e32 v5, v42, v19
	v_mul_f32_e32 v11, v42, v20
	v_fma_f32 v5, v41, v20, -v5
	s_clause 0x1
	buffer_load_dword v20, off, s[20:23], 0 offset:112
	buffer_load_dword v21, off, s[20:23], 0 offset:116
	v_fmac_f32_e32 v11, v41, v19
	v_cvt_f64_f32_e32 v[41:42], v5
	v_cvt_f64_f32_e32 v[39:40], v11
	v_mul_f64 v[41:42], v[41:42], s[2:3]
	v_mul_f64 v[31:32], v[39:40], s[2:3]
	v_add_co_u32 v39, s0, v45, s4
	v_add_co_ci_u32_e64 v40, s0, s5, v46, s0
	s_waitcnt vmcnt(0) lgkmcnt(0)
	v_mul_f32_e32 v11, v21, v14
	v_mul_f32_e32 v19, v21, v13
	v_fmac_f32_e32 v11, v20, v13
	v_fma_f32 v5, v20, v14, -v19
	ds_read2_b64 v[17:20], v10 offset0:24 offset1:123
	s_clause 0x3
	buffer_load_dword v47, off, s[20:23], 0 offset:96
	buffer_load_dword v48, off, s[20:23], 0 offset:100
	buffer_load_dword v49, off, s[20:23], 0 offset:88
	buffer_load_dword v50, off, s[20:23], 0 offset:92
	v_mul_f64 v[13:14], v[35:36], s[2:3]
	v_mul_f64 v[35:36], v[37:38], s[2:3]
	v_cvt_f64_f32_e32 v[43:44], v5
	v_cvt_f64_f32_e32 v[37:38], v11
	v_cvt_f32_f64_e32 v34, v[13:14]
	v_cvt_f32_f64_e32 v35, v[35:36]
	;; [unrolled: 1-line block ×3, first 2 shown]
	v_add_co_u32 v27, s0, v39, s4
	v_add_co_ci_u32_e64 v28, s0, s5, v40, s0
	global_store_dwordx2 v[25:26], v[0:1], off
	global_store_dwordx2 v[45:46], v[23:24], off
	;; [unrolled: 1-line block ×4, first 2 shown]
	v_add_co_u32 v0, s0, v27, s4
	v_add_co_ci_u32_e64 v1, s0, s5, v28, s0
	v_mul_f64 v[37:38], v[37:38], s[2:3]
	v_add_co_u32 v23, s0, v0, s4
	v_add_co_ci_u32_e64 v24, s0, s5, v1, s0
	global_store_dwordx2 v[0:1], v[35:36], off
	v_mul_f64 v[43:44], v[43:44], s[2:3]
	v_cvt_f32_f64_e32 v21, v[37:38]
	s_waitcnt vmcnt(2)
	v_mul_f32_e32 v5, v48, v16
	v_mul_f32_e32 v11, v48, v15
	s_waitcnt vmcnt(0) lgkmcnt(0)
	v_mul_f32_e32 v13, v50, v18
	v_mul_f32_e32 v14, v50, v17
	v_fmac_f32_e32 v5, v47, v15
	v_fma_f32 v11, v47, v16, -v11
	v_fmac_f32_e32 v13, v49, v17
	v_cvt_f32_f64_e32 v17, v[31:32]
	v_cvt_f64_f32_e32 v[47:48], v5
	v_fma_f32 v5, v49, v18, -v14
	v_cvt_f32_f64_e32 v18, v[41:42]
	v_cvt_f64_f32_e32 v[41:42], v13
	ds_read2_b64 v[13:16], v22 offset0:94 offset1:193
	s_clause 0x1
	buffer_load_dword v35, off, s[20:23], 0 offset:80
	buffer_load_dword v36, off, s[20:23], 0 offset:84
	v_cvt_f64_f32_e32 v[31:32], v11
	v_cvt_f32_f64_e32 v22, v[43:44]
	v_cvt_f64_f32_e32 v[49:50], v5
	v_mul_f64 v[0:1], v[47:48], s[2:3]
	global_store_dwordx2 v[23:24], v[17:18], off
	s_clause 0x1
	buffer_load_dword v33, off, s[20:23], 0 offset:72
	buffer_load_dword v34, off, s[20:23], 0 offset:76
	v_add_co_u32 v23, s0, v23, s4
	v_mul_f64 v[25:26], v[31:32], s[2:3]
	v_add_co_ci_u32_e64 v24, s0, s5, v24, s0
	v_mul_f64 v[29:30], v[49:50], s[2:3]
	v_mul_f64 v[27:28], v[41:42], s[2:3]
	global_store_dwordx2 v[23:24], v[21:22], off
	v_cvt_f32_f64_e32 v0, v[0:1]
	v_cvt_f32_f64_e32 v1, v[25:26]
	v_add_co_u32 v25, s0, v23, s4
	v_add_co_ci_u32_e64 v26, s0, s5, v24, s0
	ds_read2_b64 v[21:24], v9 offset0:106 offset1:205
	v_cvt_f32_f64_e32 v27, v[27:28]
	v_cvt_f32_f64_e32 v28, v[29:30]
	v_add_co_u32 v29, s0, v25, s4
	v_add_co_ci_u32_e64 v30, s0, s5, v26, s0
	s_waitcnt vmcnt(2)
	v_mul_f32_e32 v5, v36, v20
	v_mul_f32_e32 v11, v36, v19
	v_fmac_f32_e32 v5, v35, v19
	v_fma_f32 v11, v35, v20, -v11
	v_cvt_f64_f32_e32 v[31:32], v5
	v_add_nc_u32_e32 v5, 0x2400, v249
	s_waitcnt vmcnt(0) lgkmcnt(1)
	v_mul_f32_e32 v17, v34, v14
	v_mul_f32_e32 v18, v34, v13
	v_fmac_f32_e32 v17, v33, v13
	v_fma_f32 v18, v33, v14, -v18
	v_cvt_f64_f32_e32 v[13:14], v11
	v_cvt_f64_f32_e32 v[33:34], v17
	;; [unrolled: 1-line block ×3, first 2 shown]
	ds_read2_b64 v[17:20], v5 offset0:36 offset1:135
	s_clause 0x1
	buffer_load_dword v37, off, s[20:23], 0 offset:40
	buffer_load_dword v38, off, s[20:23], 0 offset:44
	v_mul_f64 v[31:32], v[31:32], s[2:3]
	v_mul_f64 v[13:14], v[13:14], s[2:3]
	s_waitcnt vmcnt(0)
	v_mul_f32_e32 v9, v38, v16
	v_mul_f32_e32 v11, v38, v15
	v_fmac_f32_e32 v9, v37, v15
	v_fma_f32 v11, v37, v16, -v11
	ds_read_b64 v[37:38], v249 offset:12672
	s_clause 0x5
	buffer_load_dword v46, off, s[20:23], 0 offset:16
	buffer_load_dword v47, off, s[20:23], 0 offset:20
	;; [unrolled: 1-line block ×4, first 2 shown]
	buffer_load_dword v49, off, s[20:23], 0
	buffer_load_dword v50, off, s[20:23], 0 offset:4
	v_mul_f64 v[15:16], v[33:34], s[2:3]
	v_mul_f64 v[33:34], v[35:36], s[2:3]
	v_cvt_f64_f32_e32 v[35:36], v9
	v_cvt_f64_f32_e32 v[39:40], v11
	v_cvt_f32_f64_e32 v15, v[15:16]
	v_cvt_f32_f64_e32 v16, v[33:34]
	s_waitcnt vmcnt(4) lgkmcnt(1)
	v_mul_f32_e32 v9, v47, v18
	v_mul_f32_e32 v11, v47, v17
	s_waitcnt vmcnt(0)
	v_mul_f32_e32 v45, v50, v22
	v_mul_f32_e32 v41, v44, v20
	;; [unrolled: 1-line block ×3, first 2 shown]
	v_fmac_f32_e32 v9, v46, v17
	v_fma_f32 v11, v46, v18, -v11
	v_fmac_f32_e32 v45, v49, v21
	v_fmac_f32_e32 v41, v43, v19
	v_fma_f32 v43, v43, v20, -v42
	v_cvt_f64_f32_e32 v[17:18], v9
	v_mul_f32_e32 v9, v50, v21
	s_clause 0x1
	buffer_load_dword v50, off, s[20:23], 0 offset:24
	buffer_load_dword v51, off, s[20:23], 0 offset:28
	v_cvt_f64_f32_e32 v[19:20], v11
	v_cvt_f64_f32_e32 v[41:42], v41
	;; [unrolled: 1-line block ×3, first 2 shown]
	v_fma_f32 v9, v49, v22, -v9
	v_cvt_f64_f32_e32 v[45:46], v45
	v_mul_f64 v[17:18], v[17:18], s[2:3]
	v_mul_f64 v[19:20], v[19:20], s[2:3]
	;; [unrolled: 1-line block ×3, first 2 shown]
	v_cvt_f32_f64_e32 v17, v[17:18]
	v_cvt_f32_f64_e32 v18, v[19:20]
	s_waitcnt vmcnt(0)
	v_mul_f32_e32 v11, v51, v24
	v_mul_f32_e32 v21, v51, v23
	s_clause 0x1
	buffer_load_dword v51, off, s[20:23], 0 offset:32
	buffer_load_dword v52, off, s[20:23], 0 offset:36
	global_store_dwordx2 v[25:26], v[0:1], off
	global_store_dwordx2 v[29:30], v[27:28], off
	v_cvt_f32_f64_e32 v1, v[13:14]
	v_fmac_f32_e32 v11, v50, v23
	v_fma_f32 v49, v50, v24, -v21
	v_cvt_f64_f32_e32 v[21:22], v9
	v_mul_f64 v[13:14], v[35:36], s[2:3]
	v_mul_f64 v[25:26], v[39:40], s[2:3]
	v_cvt_f64_f32_e32 v[23:24], v11
	v_add_co_u32 v27, s0, v29, s4
	v_cvt_f32_f64_e32 v0, v[31:32]
	v_add_co_ci_u32_e64 v28, s0, s5, v30, s0
	v_mul_f64 v[29:30], v[41:42], s[2:3]
	v_mul_f64 v[31:32], v[43:44], s[2:3]
	v_add_co_u32 v41, s0, v27, s4
	v_add_co_ci_u32_e64 v42, s0, s5, v28, s0
	v_mul_f64 v[21:22], v[21:22], s[2:3]
	v_cvt_f32_f64_e32 v13, v[13:14]
	v_cvt_f32_f64_e32 v14, v[25:26]
	v_mul_f64 v[23:24], v[23:24], s[2:3]
	v_add_co_u32 v25, s0, v41, s4
	v_add_co_ci_u32_e64 v26, s0, s5, v42, s0
	global_store_dwordx2 v[27:28], v[0:1], off
	v_add_co_u32 v19, s0, v25, s4
	v_add_co_ci_u32_e64 v20, s0, s5, v26, s0
	v_cvt_f32_f64_e32 v29, v[29:30]
	v_cvt_f32_f64_e32 v30, v[31:32]
	v_cvt_f32_f64_e32 v31, v[33:34]
	v_add_co_u32 v33, s0, v19, s4
	v_add_co_ci_u32_e64 v34, s0, s5, v20, s0
	global_store_dwordx2 v[41:42], v[15:16], off
	v_add_co_u32 v27, s0, v33, s4
	v_cvt_f32_f64_e32 v32, v[21:22]
	v_add_co_ci_u32_e64 v28, s0, s5, v34, s0
	v_cvt_f32_f64_e32 v21, v[23:24]
	v_add_co_u32 v15, s0, v27, s4
	v_add_co_ci_u32_e64 v16, s0, s5, v28, s0
	global_store_dwordx2 v[25:26], v[13:14], off
	v_add_co_u32 v0, s0, v15, s4
	v_add_co_ci_u32_e64 v1, s0, s5, v16, s0
	s_waitcnt vmcnt(0) lgkmcnt(0)
	v_mul_f32_e32 v47, v52, v38
	v_mul_f32_e32 v48, v52, v37
	v_fmac_f32_e32 v47, v51, v37
	v_fma_f32 v50, v51, v38, -v48
	v_cvt_f64_f32_e32 v[37:38], v49
	v_cvt_f64_f32_e32 v[47:48], v47
	;; [unrolled: 1-line block ×3, first 2 shown]
	v_mul_f64 v[35:36], v[37:38], s[2:3]
	v_mul_f64 v[37:38], v[47:48], s[2:3]
	;; [unrolled: 1-line block ×3, first 2 shown]
	v_cvt_f32_f64_e32 v22, v[35:36]
	v_cvt_f32_f64_e32 v23, v[37:38]
	;; [unrolled: 1-line block ×3, first 2 shown]
	global_store_dwordx2 v[19:20], v[17:18], off
	global_store_dwordx2 v[33:34], v[29:30], off
	global_store_dwordx2 v[27:28], v[31:32], off
	global_store_dwordx2 v[15:16], v[21:22], off
	global_store_dwordx2 v[0:1], v[23:24], off
	s_and_b32 exec_lo, exec_lo, vcc_lo
	s_cbranch_execz .LBB0_15
; %bb.14:
	global_load_dwordx2 v[17:18], v[241:242], off offset:408
	ds_read2_b64 v[13:16], v249 offset0:51 offset1:150
	v_mad_u64_u32 v[0:1], null, 0xffffd018, s8, v[0:1]
	s_mul_i32 s0, s9, 0xffffd018
	s_sub_i32 s0, s0, s8
	v_add_nc_u32_e32 v1, s0, v1
	s_waitcnt vmcnt(0) lgkmcnt(0)
	v_mul_f32_e32 v9, v14, v18
	v_mul_f32_e32 v11, v13, v18
	v_fmac_f32_e32 v9, v13, v17
	v_fma_f32 v11, v17, v14, -v11
	v_cvt_f64_f32_e32 v[13:14], v9
	v_cvt_f64_f32_e32 v[17:18], v11
	v_mul_f64 v[13:14], v[13:14], s[2:3]
	v_mul_f64 v[17:18], v[17:18], s[2:3]
	v_cvt_f32_f64_e32 v13, v[13:14]
	v_cvt_f32_f64_e32 v14, v[17:18]
	global_store_dwordx2 v[0:1], v[13:14], off
	global_load_dwordx2 v[13:14], v[241:242], off offset:1200
	v_add_co_u32 v0, vcc_lo, v0, s4
	v_add_co_ci_u32_e32 v1, vcc_lo, s5, v1, vcc_lo
	s_waitcnt vmcnt(0)
	v_mul_f32_e32 v9, v16, v14
	v_mul_f32_e32 v11, v15, v14
	v_fmac_f32_e32 v9, v15, v13
	v_fma_f32 v11, v13, v16, -v11
	v_cvt_f64_f32_e32 v[13:14], v9
	v_cvt_f64_f32_e32 v[15:16], v11
	v_mul_f64 v[13:14], v[13:14], s[2:3]
	v_mul_f64 v[15:16], v[15:16], s[2:3]
	v_cvt_f32_f64_e32 v13, v[13:14]
	v_cvt_f32_f64_e32 v14, v[15:16]
	global_store_dwordx2 v[0:1], v[13:14], off
	global_load_dwordx2 v[17:18], v[241:242], off offset:1992
	ds_read2_b64 v[13:16], v4 offset0:121 offset1:220
	v_add_co_u32 v0, vcc_lo, v0, s4
	v_add_co_ci_u32_e32 v1, vcc_lo, s5, v1, vcc_lo
	s_waitcnt vmcnt(0) lgkmcnt(0)
	v_mul_f32_e32 v4, v14, v18
	v_mul_f32_e32 v9, v13, v18
	v_fmac_f32_e32 v4, v13, v17
	v_fma_f32 v9, v17, v14, -v9
	v_cvt_f64_f32_e32 v[13:14], v4
	v_cvt_f64_f32_e32 v[17:18], v9
	v_mul_f64 v[13:14], v[13:14], s[2:3]
	v_mul_f64 v[17:18], v[17:18], s[2:3]
	v_cvt_f32_f64_e32 v13, v[13:14]
	v_cvt_f32_f64_e32 v14, v[17:18]
	global_store_dwordx2 v[0:1], v[13:14], off
	global_load_dwordx2 v[13:14], v[239:240], off offset:736
	v_add_co_u32 v0, vcc_lo, v0, s4
	v_add_co_ci_u32_e32 v1, vcc_lo, s5, v1, vcc_lo
	s_waitcnt vmcnt(0)
	v_mul_f32_e32 v4, v16, v14
	v_mul_f32_e32 v9, v15, v14
	v_fmac_f32_e32 v4, v15, v13
	v_fma_f32 v9, v13, v16, -v9
	v_cvt_f64_f32_e32 v[13:14], v4
	v_cvt_f64_f32_e32 v[15:16], v9
	v_mul_f64 v[13:14], v[13:14], s[2:3]
	v_mul_f64 v[15:16], v[15:16], s[2:3]
	v_cvt_f32_f64_e32 v13, v[13:14]
	v_cvt_f32_f64_e32 v14, v[15:16]
	global_store_dwordx2 v[0:1], v[13:14], off
	global_load_dwordx2 v[17:18], v[239:240], off offset:1528
	ds_read2_b64 v[13:16], v8 offset0:63 offset1:162
	v_add_co_u32 v0, vcc_lo, v0, s4
	v_add_co_ci_u32_e32 v1, vcc_lo, s5, v1, vcc_lo
	s_waitcnt vmcnt(0) lgkmcnt(0)
	v_mul_f32_e32 v4, v14, v18
	v_mul_f32_e32 v8, v13, v18
	v_fmac_f32_e32 v4, v13, v17
	v_fma_f32 v11, v17, v14, -v8
	v_cvt_f64_f32_e32 v[8:9], v4
	v_cvt_f64_f32_e32 v[13:14], v11
	v_mul_f64 v[8:9], v[8:9], s[2:3]
	v_mul_f64 v[13:14], v[13:14], s[2:3]
	v_cvt_f32_f64_e32 v8, v[8:9]
	v_cvt_f32_f64_e32 v9, v[13:14]
	global_store_dwordx2 v[0:1], v[8:9], off
	global_load_dwordx2 v[8:9], v[237:238], off offset:272
	v_add_co_u32 v0, vcc_lo, v0, s4
	v_add_co_ci_u32_e32 v1, vcc_lo, s5, v1, vcc_lo
	s_waitcnt vmcnt(0)
	v_mul_f32_e32 v4, v16, v9
	v_mul_f32_e32 v9, v15, v9
	v_fmac_f32_e32 v4, v15, v8
	v_fma_f32 v11, v8, v16, -v9
	v_cvt_f64_f32_e32 v[8:9], v4
	v_cvt_f64_f32_e32 v[13:14], v11
	v_mul_f64 v[8:9], v[8:9], s[2:3]
	v_mul_f64 v[13:14], v[13:14], s[2:3]
	v_cvt_f32_f64_e32 v8, v[8:9]
	v_cvt_f32_f64_e32 v9, v[13:14]
	ds_read2_b64 v[13:16], v7 offset0:133 offset1:232
	global_store_dwordx2 v[0:1], v[8:9], off
	global_load_dwordx2 v[8:9], v[237:238], off offset:1064
	v_add_co_u32 v0, vcc_lo, v0, s4
	v_add_co_ci_u32_e32 v1, vcc_lo, s5, v1, vcc_lo
	s_waitcnt vmcnt(0) lgkmcnt(0)
	v_mul_f32_e32 v4, v14, v9
	v_mul_f32_e32 v7, v13, v9
	v_fmac_f32_e32 v4, v13, v8
	v_fma_f32 v9, v8, v14, -v7
	v_cvt_f64_f32_e32 v[7:8], v4
	v_cvt_f64_f32_e32 v[13:14], v9
	v_mul_f64 v[7:8], v[7:8], s[2:3]
	v_mul_f64 v[13:14], v[13:14], s[2:3]
	v_cvt_f32_f64_e32 v7, v[7:8]
	v_cvt_f32_f64_e32 v8, v[13:14]
	global_store_dwordx2 v[0:1], v[7:8], off
	global_load_dwordx2 v[7:8], v[237:238], off offset:1856
	v_add_co_u32 v0, vcc_lo, v0, s4
	v_add_co_ci_u32_e32 v1, vcc_lo, s5, v1, vcc_lo
	s_waitcnt vmcnt(0)
	v_mul_f32_e32 v4, v16, v8
	v_mul_f32_e32 v8, v15, v8
	v_fmac_f32_e32 v4, v15, v7
	v_fma_f32 v9, v7, v16, -v8
	v_cvt_f64_f32_e32 v[7:8], v4
	v_cvt_f64_f32_e32 v[13:14], v9
	v_mul_f64 v[7:8], v[7:8], s[2:3]
	v_mul_f64 v[13:14], v[13:14], s[2:3]
	v_cvt_f32_f64_e32 v7, v[7:8]
	v_cvt_f32_f64_e32 v8, v[13:14]
	global_store_dwordx2 v[0:1], v[7:8], off
	global_load_dwordx2 v[13:14], v[235:236], off offset:600
	ds_read2_b64 v[7:10], v10 offset0:75 offset1:174
	v_add_co_u32 v0, vcc_lo, v0, s4
	v_add_co_ci_u32_e32 v1, vcc_lo, s5, v1, vcc_lo
	s_waitcnt vmcnt(0) lgkmcnt(0)
	v_mul_f32_e32 v4, v8, v14
	v_mul_f32_e32 v11, v7, v14
	v_fmac_f32_e32 v4, v7, v13
	v_fma_f32 v11, v13, v8, -v11
	v_cvt_f64_f32_e32 v[7:8], v4
	v_cvt_f64_f32_e32 v[13:14], v11
	v_mul_f64 v[7:8], v[7:8], s[2:3]
	v_mul_f64 v[13:14], v[13:14], s[2:3]
	v_cvt_f32_f64_e32 v7, v[7:8]
	v_cvt_f32_f64_e32 v8, v[13:14]
	global_store_dwordx2 v[0:1], v[7:8], off
	global_load_dwordx2 v[7:8], v[235:236], off offset:1392
	v_add_co_u32 v0, vcc_lo, v0, s4
	v_add_co_ci_u32_e32 v1, vcc_lo, s5, v1, vcc_lo
	s_waitcnt vmcnt(0)
	v_mul_f32_e32 v4, v10, v8
	v_mul_f32_e32 v8, v9, v8
	v_fmac_f32_e32 v4, v9, v7
	v_fma_f32 v9, v7, v10, -v8
	v_cvt_f64_f32_e32 v[7:8], v4
	v_cvt_f64_f32_e32 v[9:10], v9
	v_mul_f64 v[7:8], v[7:8], s[2:3]
	v_mul_f64 v[9:10], v[9:10], s[2:3]
	v_cvt_f32_f64_e32 v7, v[7:8]
	v_cvt_f32_f64_e32 v8, v[9:10]
	global_store_dwordx2 v[0:1], v[7:8], off
	global_load_dwordx2 v[10:11], v[233:234], off offset:136
	ds_read2_b64 v[6:9], v6 offset0:17 offset1:116
	v_add_co_u32 v0, vcc_lo, v0, s4
	v_add_co_ci_u32_e32 v1, vcc_lo, s5, v1, vcc_lo
	s_waitcnt vmcnt(0) lgkmcnt(0)
	v_mul_f32_e32 v4, v7, v11
	v_mul_f32_e32 v11, v6, v11
	v_fmac_f32_e32 v4, v6, v10
	v_fma_f32 v10, v10, v7, -v11
	v_cvt_f64_f32_e32 v[6:7], v4
	v_cvt_f64_f32_e32 v[10:11], v10
	v_mul_f64 v[6:7], v[6:7], s[2:3]
	v_mul_f64 v[10:11], v[10:11], s[2:3]
	v_cvt_f32_f64_e32 v6, v[6:7]
	v_cvt_f32_f64_e32 v7, v[10:11]
	global_store_dwordx2 v[0:1], v[6:7], off
	global_load_dwordx2 v[6:7], v[233:234], off offset:928
	v_add_co_u32 v0, vcc_lo, v0, s4
	v_add_co_ci_u32_e32 v1, vcc_lo, s5, v1, vcc_lo
	s_waitcnt vmcnt(0)
	v_mul_f32_e32 v4, v9, v7
	v_mul_f32_e32 v7, v8, v7
	v_fmac_f32_e32 v4, v8, v6
	v_fma_f32 v8, v6, v9, -v7
	v_cvt_f64_f32_e32 v[6:7], v4
	v_cvt_f64_f32_e32 v[8:9], v8
	v_mul_f64 v[6:7], v[6:7], s[2:3]
	v_mul_f64 v[8:9], v[8:9], s[2:3]
	v_cvt_f32_f64_e32 v6, v[6:7]
	v_cvt_f32_f64_e32 v7, v[8:9]
	global_store_dwordx2 v[0:1], v[6:7], off
	global_load_dwordx2 v[8:9], v[233:234], off offset:1720
	ds_read2_b64 v[4:7], v5 offset0:87 offset1:186
	v_add_co_u32 v0, vcc_lo, v0, s4
	v_add_co_ci_u32_e32 v1, vcc_lo, s5, v1, vcc_lo
	s_waitcnt vmcnt(0) lgkmcnt(0)
	v_mul_f32_e32 v10, v5, v9
	v_mul_f32_e32 v9, v4, v9
	v_fmac_f32_e32 v10, v4, v8
	v_fma_f32 v8, v8, v5, -v9
	v_cvt_f64_f32_e32 v[4:5], v10
	v_cvt_f64_f32_e32 v[8:9], v8
	v_mul_f64 v[4:5], v[4:5], s[2:3]
	v_mul_f64 v[8:9], v[8:9], s[2:3]
	v_cvt_f32_f64_e32 v4, v[4:5]
	v_cvt_f32_f64_e32 v5, v[8:9]
	global_store_dwordx2 v[0:1], v[4:5], off
	global_load_dwordx2 v[4:5], v[231:232], off offset:464
	v_add_co_u32 v0, vcc_lo, v0, s4
	v_add_co_ci_u32_e32 v1, vcc_lo, s5, v1, vcc_lo
	s_waitcnt vmcnt(0)
	v_mul_f32_e32 v8, v7, v5
	v_mul_f32_e32 v5, v6, v5
	v_fmac_f32_e32 v8, v6, v4
	v_fma_f32 v6, v4, v7, -v5
	v_cvt_f64_f32_e32 v[4:5], v8
	v_cvt_f64_f32_e32 v[6:7], v6
	v_mul_f64 v[4:5], v[4:5], s[2:3]
	v_mul_f64 v[6:7], v[6:7], s[2:3]
	v_cvt_f32_f64_e32 v4, v[4:5]
	v_cvt_f32_f64_e32 v5, v[6:7]
	global_store_dwordx2 v[0:1], v[4:5], off
	global_load_dwordx2 v[8:9], v[231:232], off offset:1256
	ds_read2_b64 v[4:7], v12 offset0:29 offset1:128
	v_add_co_u32 v0, vcc_lo, v0, s4
	v_add_co_ci_u32_e32 v1, vcc_lo, s5, v1, vcc_lo
	s_waitcnt vmcnt(0) lgkmcnt(0)
	v_mul_f32_e32 v10, v5, v9
	v_mul_f32_e32 v9, v4, v9
	v_fmac_f32_e32 v10, v4, v8
	v_fma_f32 v8, v8, v5, -v9
	v_cvt_f64_f32_e32 v[4:5], v10
	v_cvt_f64_f32_e32 v[8:9], v8
	v_mul_f64 v[4:5], v[4:5], s[2:3]
	v_mul_f64 v[8:9], v[8:9], s[2:3]
	v_cvt_f32_f64_e32 v4, v[4:5]
	v_cvt_f32_f64_e32 v5, v[8:9]
	v_lshlrev_b32_e32 v8, 3, v243
	global_store_dwordx2 v[0:1], v[4:5], off
	global_load_dwordx2 v[4:5], v8, s[6:7]
	v_mad_u64_u32 v[0:1], null, 0x630, s8, v[0:1]
	s_waitcnt vmcnt(0)
	v_mul_f32_e32 v8, v7, v5
	v_mul_f32_e32 v5, v6, v5
	v_fmac_f32_e32 v8, v6, v4
	v_fma_f32 v6, v4, v7, -v5
	v_cvt_f64_f32_e32 v[4:5], v8
	v_cvt_f64_f32_e32 v[6:7], v6
	v_mad_u64_u32 v[8:9], null, s8, v243, 0
	v_mad_u64_u32 v[9:10], null, s9, v243, v[9:10]
	v_mul_f64 v[4:5], v[4:5], s[2:3]
	v_mul_f64 v[6:7], v[6:7], s[2:3]
	v_cvt_f32_f64_e32 v4, v[4:5]
	v_cvt_f32_f64_e32 v5, v[6:7]
	v_lshlrev_b64 v[6:7], 3, v[8:9]
	v_add_co_u32 v2, vcc_lo, v2, v6
	v_add_co_ci_u32_e32 v3, vcc_lo, v3, v7, vcc_lo
	global_store_dwordx2 v[2:3], v[4:5], off
	global_load_dwordx2 v[2:3], v[208:209], off offset:792
	ds_read_b64 v[4:5], v249 offset:13080
	s_waitcnt vmcnt(0) lgkmcnt(0)
	v_mul_f32_e32 v6, v5, v3
	v_mul_f32_e32 v3, v4, v3
	v_fmac_f32_e32 v6, v4, v2
	v_fma_f32 v4, v2, v5, -v3
	v_cvt_f64_f32_e32 v[2:3], v6
	v_cvt_f64_f32_e32 v[4:5], v4
	v_mul_f64 v[2:3], v[2:3], s[2:3]
	v_mul_f64 v[4:5], v[4:5], s[2:3]
	v_cvt_f32_f64_e32 v2, v[2:3]
	v_cvt_f32_f64_e32 v3, v[4:5]
	v_mad_u64_u32 v[4:5], null, 0x630, s9, v[1:2]
	v_mov_b32_e32 v1, v4
	global_store_dwordx2 v[0:1], v[2:3], off
.LBB0_15:
	s_endpgm
	.section	.rodata,"a",@progbits
	.p2align	6, 0x0
	.amdhsa_kernel bluestein_single_back_len1683_dim1_sp_op_CI_CI
		.amdhsa_group_segment_fixed_size 13464
		.amdhsa_private_segment_fixed_size 324
		.amdhsa_kernarg_size 104
		.amdhsa_user_sgpr_count 6
		.amdhsa_user_sgpr_private_segment_buffer 1
		.amdhsa_user_sgpr_dispatch_ptr 0
		.amdhsa_user_sgpr_queue_ptr 0
		.amdhsa_user_sgpr_kernarg_segment_ptr 1
		.amdhsa_user_sgpr_dispatch_id 0
		.amdhsa_user_sgpr_flat_scratch_init 0
		.amdhsa_user_sgpr_private_segment_size 0
		.amdhsa_wavefront_size32 1
		.amdhsa_uses_dynamic_stack 0
		.amdhsa_system_sgpr_private_segment_wavefront_offset 1
		.amdhsa_system_sgpr_workgroup_id_x 1
		.amdhsa_system_sgpr_workgroup_id_y 0
		.amdhsa_system_sgpr_workgroup_id_z 0
		.amdhsa_system_sgpr_workgroup_info 0
		.amdhsa_system_vgpr_workitem_id 0
		.amdhsa_next_free_vgpr 256
		.amdhsa_next_free_sgpr 24
		.amdhsa_reserve_vcc 1
		.amdhsa_reserve_flat_scratch 0
		.amdhsa_float_round_mode_32 0
		.amdhsa_float_round_mode_16_64 0
		.amdhsa_float_denorm_mode_32 3
		.amdhsa_float_denorm_mode_16_64 3
		.amdhsa_dx10_clamp 1
		.amdhsa_ieee_mode 1
		.amdhsa_fp16_overflow 0
		.amdhsa_workgroup_processor_mode 1
		.amdhsa_memory_ordered 1
		.amdhsa_forward_progress 0
		.amdhsa_shared_vgpr_count 0
		.amdhsa_exception_fp_ieee_invalid_op 0
		.amdhsa_exception_fp_denorm_src 0
		.amdhsa_exception_fp_ieee_div_zero 0
		.amdhsa_exception_fp_ieee_overflow 0
		.amdhsa_exception_fp_ieee_underflow 0
		.amdhsa_exception_fp_ieee_inexact 0
		.amdhsa_exception_int_div_zero 0
	.end_amdhsa_kernel
	.text
.Lfunc_end0:
	.size	bluestein_single_back_len1683_dim1_sp_op_CI_CI, .Lfunc_end0-bluestein_single_back_len1683_dim1_sp_op_CI_CI
                                        ; -- End function
	.section	.AMDGPU.csdata,"",@progbits
; Kernel info:
; codeLenInByte = 50728
; NumSgprs: 26
; NumVgprs: 256
; ScratchSize: 324
; MemoryBound: 0
; FloatMode: 240
; IeeeMode: 1
; LDSByteSize: 13464 bytes/workgroup (compile time only)
; SGPRBlocks: 3
; VGPRBlocks: 31
; NumSGPRsForWavesPerEU: 26
; NumVGPRsForWavesPerEU: 256
; Occupancy: 4
; WaveLimiterHint : 1
; COMPUTE_PGM_RSRC2:SCRATCH_EN: 1
; COMPUTE_PGM_RSRC2:USER_SGPR: 6
; COMPUTE_PGM_RSRC2:TRAP_HANDLER: 0
; COMPUTE_PGM_RSRC2:TGID_X_EN: 1
; COMPUTE_PGM_RSRC2:TGID_Y_EN: 0
; COMPUTE_PGM_RSRC2:TGID_Z_EN: 0
; COMPUTE_PGM_RSRC2:TIDIG_COMP_CNT: 0
	.text
	.p2alignl 6, 3214868480
	.fill 48, 4, 3214868480
	.type	__hip_cuid_a2fad1c8767c7f98,@object ; @__hip_cuid_a2fad1c8767c7f98
	.section	.bss,"aw",@nobits
	.globl	__hip_cuid_a2fad1c8767c7f98
__hip_cuid_a2fad1c8767c7f98:
	.byte	0                               ; 0x0
	.size	__hip_cuid_a2fad1c8767c7f98, 1

	.ident	"AMD clang version 19.0.0git (https://github.com/RadeonOpenCompute/llvm-project roc-6.4.0 25133 c7fe45cf4b819c5991fe208aaa96edf142730f1d)"
	.section	".note.GNU-stack","",@progbits
	.addrsig
	.addrsig_sym __hip_cuid_a2fad1c8767c7f98
	.amdgpu_metadata
---
amdhsa.kernels:
  - .args:
      - .actual_access:  read_only
        .address_space:  global
        .offset:         0
        .size:           8
        .value_kind:     global_buffer
      - .actual_access:  read_only
        .address_space:  global
        .offset:         8
        .size:           8
        .value_kind:     global_buffer
      - .actual_access:  read_only
        .address_space:  global
        .offset:         16
        .size:           8
        .value_kind:     global_buffer
      - .actual_access:  read_only
        .address_space:  global
        .offset:         24
        .size:           8
        .value_kind:     global_buffer
      - .actual_access:  read_only
        .address_space:  global
        .offset:         32
        .size:           8
        .value_kind:     global_buffer
      - .offset:         40
        .size:           8
        .value_kind:     by_value
      - .address_space:  global
        .offset:         48
        .size:           8
        .value_kind:     global_buffer
      - .address_space:  global
        .offset:         56
        .size:           8
        .value_kind:     global_buffer
      - .address_space:  global
        .offset:         64
        .size:           8
        .value_kind:     global_buffer
      - .address_space:  global
        .offset:         72
        .size:           8
        .value_kind:     global_buffer
      - .offset:         80
        .size:           4
        .value_kind:     by_value
      - .address_space:  global
        .offset:         88
        .size:           8
        .value_kind:     global_buffer
      - .address_space:  global
        .offset:         96
        .size:           8
        .value_kind:     global_buffer
    .group_segment_fixed_size: 13464
    .kernarg_segment_align: 8
    .kernarg_segment_size: 104
    .language:       OpenCL C
    .language_version:
      - 2
      - 0
    .max_flat_workgroup_size: 51
    .name:           bluestein_single_back_len1683_dim1_sp_op_CI_CI
    .private_segment_fixed_size: 324
    .sgpr_count:     26
    .sgpr_spill_count: 0
    .symbol:         bluestein_single_back_len1683_dim1_sp_op_CI_CI.kd
    .uniform_work_group_size: 1
    .uses_dynamic_stack: false
    .vgpr_count:     256
    .vgpr_spill_count: 80
    .wavefront_size: 32
    .workgroup_processor_mode: 1
amdhsa.target:   amdgcn-amd-amdhsa--gfx1030
amdhsa.version:
  - 1
  - 2
...

	.end_amdgpu_metadata
